;; amdgpu-corpus repo=ROCm/aiter kind=harvested arch=n/a opt=n/a

/root/src/amdgpu-assembly/repos/ROCm__aiter/hsa/gfx950/pa/pa_bf16_perblockFp8_blk1024_1tg_4w_qlen16_msk1_ps.co:	file format elf64-amdgpu

Disassembly of section .text:

0000000000002600 <_ZN5aiter45PA_A16W8_BLK1024_1TG_4W_16mx1_64nx4_MTP_PS_PBE>:
	s_and_b32 s1, s1, 0xffff                                   // 000000002600: 8601FF01 0000FFFF
	s_load_dwordx2 s[4:5], s[0:1], 0x0                         // 000000002608: C0060100 00000000
	s_load_dwordx2 s[8:9], s[0:1], 0x10                        // 000000002610: C0060200 00000010
	s_load_dwordx2 s[12:13], s[0:1], 0x20                      // 000000002618: C0060300 00000020
	s_load_dwordx2 s[16:17], s[0:1], 0x30                      // 000000002620: C0060400 00000030
	s_load_dwordx2 s[42:43], s[0:1], 0x40                      // 000000002628: C0060A80 00000040
	s_load_dwordx2 s[40:41], s[0:1], 0x50                      // 000000002630: C0060A00 00000050
	s_load_dwordx2 s[20:21], s[0:1], 0x60                      // 000000002638: C0060500 00000060
	s_load_dwordx2 s[24:25], s[0:1], 0x70                      // 000000002640: C0060600 00000070
	s_load_dword s46, s[0:1], 0x80                             // 000000002648: C0020B80 00000080
	s_load_dword s48, s[0:1], 0x90                             // 000000002650: C0020C00 00000090
	s_load_dword s49, s[0:1], 0xa0                             // 000000002658: C0020C40 000000A0
	s_load_dword s50, s[0:1], 0xb0                             // 000000002660: C0020C80 000000B0
	s_load_dword s51, s[0:1], 0xc0                             // 000000002668: C0020CC0 000000C0
	s_load_dword s52, s[0:1], 0xd0                             // 000000002670: C0020D00 000000D0
	s_load_dword s53, s[0:1], 0xe0                             // 000000002678: C0020D40 000000E0
	s_load_dwordx2 s[44:45], s[0:1], 0x100                     // 000000002680: C0060B00 00000100
	s_load_dwordx2 s[36:37], s[0:1], 0x110                     // 000000002688: C0060900 00000110
	s_load_dwordx2 s[38:39], s[0:1], 0x120                     // 000000002690: C0060980 00000120
	s_load_dwordx2 s[28:29], s[0:1], 0x130                     // 000000002698: C0060700 00000130
	s_load_dwordx2 s[32:33], s[0:1], 0x140                     // 0000000026A0: C0060800 00000140
	v_lshrrev_b32_e32 v1, 10, v0                               // 0000000026A8: 2002008A
	v_lshrrev_b32_e32 v2, 10, v1                               // 0000000026AC: 2004028A
	v_and_b32_e32 v2, 0x3ff, v2                                // 0000000026B0: 260404FF 000003FF
	v_and_b32_e32 v1, 0x3ff, v1                                // 0000000026B8: 260202FF 000003FF
	v_and_b32_e32 v0, 0x3ff, v0                                // 0000000026C0: 260000FF 000003FF
	v_lshrrev_b32_e32 v3, 6, v0                                // 0000000026C8: 20060086
	v_and_b32_e32 v0, 63, v0                                   // 0000000026CC: 260000BF
	s_mov_b32 s58, s2                                          // 0000000026D0: BEBA0002
	v_readfirstlane_b32 s57, v3                                // 0000000026D4: 7E720503
	s_mov_b32 s56, 0x7060302                                   // 0000000026D8: BEB800FF 07060302
	v_mov_b32_e32 v102, 0xffff0000                             // 0000000026E0: 7ECC02FF FFFF0000
	v_mov_b32_e32 v103, 0x7fff0000                             // 0000000026E8: 7ECE02FF 7FFF0000
	v_mov_b32_e32 v104, 0x7fff                                 // 0000000026F0: 7ED002FF 00007FFF
	v_mov_b32_e32 v107, 0xff800000                             // 0000000026F8: 7ED602FF FF800000
	s_waitcnt lgkmcnt(0)                                       // 000000002700: BF8CC07F
	s_lshl_b32 s54, s58, 2                                     // 000000002704: 8E36823A
	s_and_b32 s37, s37, 0xffff                                 // 000000002708: 8625FF25 0000FFFF
	s_load_dwordx2 s[80:81], s[36:37], s54                     // 000000002710: C0041412 00000036
	s_mul_i32 s54, s53, 0x100                                  // 000000002718: 9236FF35 00000100
	s_mul_i32 s67, s48, s54                                    // 000000002720: 92433630
	s_mul_i32 s66, s48, 4                                      // 000000002724: 92428430
	s_mov_b32 s47, s46                                         // 000000002728: BEAF002E
	s_mov_b32 s10, 0x80000000                                  // 00000000272C: BE8A00FF 80000000
	s_mov_b32 s11, 0x20000                                     // 000000002734: BE8B00FF 00020000
	s_and_b32 s9, s9, 0xffff                                   // 00000000273C: 8609FF09 0000FFFF
	s_or_b32 s9, s9, 0                                         // 000000002744: 87098009
	s_mov_b32 s84, s8                                          // 000000002748: BED40008
	s_mov_b32 s85, s9                                          // 00000000274C: BED50009
	s_mov_b32 s6, 0x80000000                                   // 000000002750: BE8600FF 80000000
	s_mov_b32 s7, 0x20000                                      // 000000002758: BE8700FF 00020000
	s_and_b32 s5, s5, 0xffff                                   // 000000002760: 8605FF05 0000FFFF
	s_or_b32 s5, s5, 0                                         // 000000002768: 87058005
	s_mov_b32 s82, s4                                          // 00000000276C: BED20004
	s_mov_b32 s83, s5                                          // 000000002770: BED30005
	s_mov_b32 s30, 0x80000000                                  // 000000002774: BE9E00FF 80000000
	s_mov_b32 s31, 0x20000                                     // 00000000277C: BE9F00FF 00020000
	s_and_b32 s29, s29, 0xffff                                 // 000000002784: 861DFF1D 0000FFFF
	s_or_b32 s29, s29, 0                                       // 00000000278C: 871D801D
	s_mov_b32 s94, s28                                         // 000000002790: BEDE001C
	s_mov_b32 s95, s29                                         // 000000002794: BEDF001D
	s_mov_b32 s34, 0x80000000                                  // 000000002798: BEA200FF 80000000
	s_mov_b32 s35, 0x20000                                     // 0000000027A0: BEA300FF 00020000
	s_and_b32 s33, s33, 0xffff                                 // 0000000027A8: 8621FF21 0000FFFF
	s_or_b32 s33, s33, 0                                       // 0000000027B0: 87218021
	s_mov_b32 s96, s32                                         // 0000000027B4: BEE00020
	s_mov_b32 s97, s33                                         // 0000000027B8: BEE10021
	s_mov_b32 s14, 0x80000000                                  // 0000000027BC: BE8E00FF 80000000
	s_mov_b32 s15, 0x20000                                     // 0000000027C4: BE8F00FF 00020000
	s_and_b32 s13, s13, 0xffff                                 // 0000000027CC: 860DFF0D 0000FFFF
	s_or_b32 s13, s13, 0                                       // 0000000027D4: 870D800D
	s_mul_i32 s55, s57, 0x100                                  // 0000000027D8: 9237FF39 00000100
	s_add_u32 s86, s12, s55                                    // 0000000027E0: 8056370C
	s_addc_u32 s87, s13, 0                                     // 0000000027E4: 8257800D
	s_mov_b32 s18, 0x80000000                                  // 0000000027E8: BE9200FF 80000000
	s_mov_b32 s19, 0x20000                                     // 0000000027F0: BE9300FF 00020000
	s_and_b32 s17, s17, 0xffff                                 // 0000000027F8: 8611FF11 0000FFFF
	s_or_b32 s17, s17, 0                                       // 000000002800: 87118011
	s_add_u32 s88, s16, s55                                    // 000000002804: 80583710
	s_addc_u32 s89, s17, 0                                     // 000000002808: 82598011
	s_mov_b32 s22, 0x80000000                                  // 00000000280C: BE9600FF 80000000
	s_mov_b32 s23, 0x20000                                     // 000000002814: BE9700FF 00020000
	s_and_b32 s21, s21, 0xffff                                 // 00000000281C: 8615FF15 0000FFFF
	s_or_b32 s21, s21, 0                                       // 000000002824: 87158015
	s_add_u32 s90, s20, 0                                      // 000000002828: 805A8014
	s_addc_u32 s91, s21, 0                                     // 00000000282C: 825B8015
	s_mov_b32 s26, 0x80000000                                  // 000000002830: BE9A00FF 80000000
	s_mov_b32 s27, 0x20000                                     // 000000002838: BE9B00FF 00020000
	s_and_b32 s25, s25, 0xffff                                 // 000000002840: 8619FF19 0000FFFF
	s_or_b32 s25, s25, 0                                       // 000000002848: 87198019
	s_add_u32 s92, s24, 0                                      // 00000000284C: 805C8018
	s_addc_u32 s93, s25, 0                                     // 000000002850: 825D8019
	s_and_b32 s39, s39, 0xffff                                 // 000000002854: 8627FF27 0000FFFF
	s_and_b32 s41, s41, 0xffff                                 // 00000000285C: 8629FF29 0000FFFF
	s_and_b32 s43, s43, 0xffff                                 // 000000002864: 862BFF2B 0000FFFF
	s_and_b32 s45, s45, 0xffff                                 // 00000000286C: 862DFF2D 0000FFFF
	v_and_b32_e32 v84, 15, v0                                  // 000000002874: 26A8008F
	v_lshlrev_b32_e32 v84, 4, v84                              // 000000002878: 24A8A884
	s_lshl_b32 s54, s57, 2                                     // 00000000287C: 8E368239
	v_lshrrev_b32_e32 v76, 4, v0                               // 000000002880: 20980084
	v_add_u32_e32 v76, s54, v76                                // 000000002884: 68989836
	v_cvt_f32_u32_e32 v72, s53                                 // 000000002888: 7E900C35
	v_sub_i32 v80, 0, s53                                      // 00000000288C: D29D0050 00006A80
	v_rcp_iflag_f32_e32 v72, v72                               // 000000002894: 7E904748
	s_nop 0                                                    // 000000002898: BF800000
	v_mul_f32_e32 v72, 0x4f7ffffe, v72                         // 00000000289C: 0A9090FF 4F7FFFFE
	v_cvt_u32_f32_e32 v72, v72                                 // 0000000028A4: 7E900F48
	v_mul_lo_u32 v73, v80, v72                                 // 0000000028A8: D2850049 00029150
	v_mul_hi_u32 v73, v72, v73                                 // 0000000028B0: D2860049 00029348
	v_add_u32_e32 v72, v72, v73                                // 0000000028B8: 68909348
	v_mul_hi_u32 v72, v76, v72                                 // 0000000028BC: D2860048 0002914C
	v_mul_lo_u32 v73, v72, s53                                 // 0000000028C4: D2850049 00006B48
	v_sub_u32_e32 v75, v76, v73                                // 0000000028CC: 6A96934C
	v_add_u32_e32 v74, 1, v72                                  // 0000000028D0: 68949081
	v_cmp_le_u32_e32 vcc, s53, v75                             // 0000000028D4: 7D969635
	v_subrev_u32_e32 v73, s53, v75                             // 0000000028D8: 6C929635
	s_nop 0                                                    // 0000000028DC: BF800000
	v_cndmask_b32_e32 v72, v72, v74, vcc                       // 0000000028E0: 00909548
	v_cndmask_b32_e32 v75, v75, v73, vcc                       // 0000000028E4: 0096934B
	v_add_u32_e32 v73, 1, v72                                  // 0000000028E8: 68929081
	v_cmp_le_u32_e32 vcc, s53, v75                             // 0000000028EC: 7D969635
	s_nop 1                                                    // 0000000028F0: BF800001
	v_cndmask_b32_e32 v80, v72, v73, vcc                       // 0000000028F4: 00A09348
	v_mul_i32_i24_e32 v74, s53, v80                            // 0000000028F8: 0C94A035
	v_sub_u32_e32 v74, v76, v74                                // 0000000028FC: 6A94954C
	v_mul_u32_u24_e32 v74, 0x100, v74                          // 000000002900: 109494FF 00000100
	v_mul_u32_u24_e32 v108, s49, v80                           // 000000002908: 10D8A031
	v_add3_u32 v108, v74, v108, v84                            // 00000000290C: D1FF006C 0552D94A
	v_mul_u32_u24_e32 v109, s67, v80                           // 000000002914: 10DAA043
	v_add3_u32 v109, v74, v109, v84                            // 000000002918: D1FF006D 0552DB4A
	s_lshl_b32 s54, s57, 6                                     // 000000002920: 8E368639
	v_lshrrev_b32_e32 v84, 4, v0                               // 000000002924: 20A80084
	v_lshlrev_b32_e32 v84, 4, v84                              // 000000002928: 24A8A884
	v_add_u32_e32 v84, s54, v84                                // 00000000292C: 68A8A836
	v_and_b32_e32 v76, 15, v0                                  // 000000002930: 2698008F
	s_mul_i32 s54, s48, s53                                    // 000000002934: 92363530
	s_lshl_b32 s54, s54, 2                                     // 000000002938: 8E368236
	s_mul_i32 s55, s54, 0x80                                   // 00000000293C: 9237FF36 00000080
	v_cvt_f32_u32_e32 v72, s53                                 // 000000002944: 7E900C35
	v_sub_i32 v80, 0, s53                                      // 000000002948: D29D0050 00006A80
	v_rcp_iflag_f32_e32 v72, v72                               // 000000002950: 7E904748
	s_nop 0                                                    // 000000002954: BF800000
	v_mul_f32_e32 v72, 0x4f7ffffe, v72                         // 000000002958: 0A9090FF 4F7FFFFE
	v_cvt_u32_f32_e32 v72, v72                                 // 000000002960: 7E900F48
	v_mul_lo_u32 v73, v80, v72                                 // 000000002964: D2850049 00029150
	v_mul_hi_u32 v73, v72, v73                                 // 00000000296C: D2860049 00029348
	v_add_u32_e32 v72, v72, v73                                // 000000002974: 68909348
	v_mul_hi_u32 v72, v76, v72                                 // 000000002978: D2860048 0002914C
	v_mul_lo_u32 v73, v72, s53                                 // 000000002980: D2850049 00006B48
	v_sub_u32_e32 v75, v76, v73                                // 000000002988: 6A96934C
	v_add_u32_e32 v74, 1, v72                                  // 00000000298C: 68949081
	v_cmp_le_u32_e32 vcc, s53, v75                             // 000000002990: 7D969635
	v_subrev_u32_e32 v73, s53, v75                             // 000000002994: 6C929635
	s_nop 0                                                    // 000000002998: BF800000
	v_cndmask_b32_e32 v72, v72, v74, vcc                       // 00000000299C: 00909548
	v_cndmask_b32_e32 v75, v75, v73, vcc                       // 0000000029A0: 0096934B
	v_add_u32_e32 v73, 1, v72                                  // 0000000029A4: 68929081
	v_cmp_le_u32_e32 vcc, s53, v75                             // 0000000029A8: 7D969635
	s_nop 1                                                    // 0000000029AC: BF800001
	v_cndmask_b32_e32 v80, v72, v73, vcc                       // 0000000029B0: 00A09348
	v_mul_i32_i24_e32 v74, s53, v80                            // 0000000029B4: 0C94A035
	v_sub_u32_e32 v74, v76, v74                                // 0000000029B8: 6A94954C
	v_lshlrev_b32_e32 v75, 2, v74                              // 0000000029BC: 24969482
	v_mul_u32_u24_e32 v118, s54, v80                           // 0000000029C0: 10ECA036
	v_add_u32_e32 v118, v75, v118                              // 0000000029C4: 68ECED4B
	v_mul_u32_u24_e32 v75, 0x200, v74                          // 0000000029C8: 109694FF 00000200
	v_mul_u32_u24_e32 v120, s55, v80                           // 0000000029D0: 10F0A037
	v_add3_u32 v120, v75, v120, v84                            // 0000000029D4: D1FF0078 0552F14B
	s_lshl_b32 s54, s57, 4                                     // 0000000029DC: 8E368439
	v_and_b32_e32 v72, 15, v0                                  // 0000000029E0: 2690008F
	v_mul_i32_i24_e32 v72, 0x50, v72                           // 0000000029E4: 0C9090FF 00000050
	v_lshrrev_b32_e32 v73, 4, v0                               // 0000000029EC: 20920084
	v_lshlrev_b32_e32 v73, 2, v73                              // 0000000029F0: 24929282
	v_add3_u32 v122, v72, v73, s54                             // 0000000029F4: D1FF007A 00DA9348
	v_and_b32_e32 v123, 15, v0                                 // 0000000029FC: 26F6008F
	v_lshlrev_b32_e32 v123, 2, v123                            // 000000002A00: 24F6F682
	s_mul_i32 s54, s57, 0x240                                  // 000000002A04: 9236FF39 00000240
	v_lshrrev_b32_e32 v72, 4, v0                               // 000000002A0C: 20900084
	v_lshlrev_b32_e32 v72, 7, v72                              // 000000002A10: 24909087
	v_lshrrev_b32_e32 v73, 5, v0                               // 000000002A14: 20920085
	v_lshlrev_b32_e32 v73, 5, v73                              // 000000002A18: 24929285
	v_and_b32_e32 v74, 15, v0                                  // 000000002A1C: 2694008F
	v_lshlrev_b32_e32 v74, 3, v74                              // 000000002A20: 24949483
	v_add3_u32 v72, v72, v73, v74                              // 000000002A24: D1FF0048 052A9348
	v_add_u32_e32 v124, s54, v72                               // 000000002A2C: 68F89036
	v_and_b32_e32 v72, 15, v0                                  // 000000002A30: 2690008F
	v_lshlrev_b32_e32 v73, 7, v72                              // 000000002A34: 24929087
	v_lshrrev_b32_e32 v72, 1, v72                              // 000000002A38: 20909081
	v_lshlrev_b32_e32 v72, 5, v72                              // 000000002A3C: 24909085
	v_lshrrev_b32_e32 v74, 4, v0                               // 000000002A40: 20940084
	v_lshlrev_b32_e32 v74, 4, v74                              // 000000002A44: 24949484
	v_add3_u32 v125, v72, v73, v74                             // 000000002A48: D1FF007D 052A9348
	s_mul_i32 s54, s57, 0x240                                  // 000000002A50: 9236FF39 00000240
	v_lshrrev_b32_e32 v72, 5, v0                               // 000000002A58: 20900085
	v_mul_i32_i24_e32 v72, 0x120, v72                          // 000000002A5C: 0C9090FF 00000120
	v_lshrrev_b32_e32 v73, 4, v0                               // 000000002A64: 20920084
	v_and_b32_e32 v73, 1, v73                                  // 000000002A68: 26929281
	v_lshlrev_b32_e32 v73, 3, v73                              // 000000002A6C: 24929283
	v_and_b32_e32 v74, 15, v0                                  // 000000002A70: 2694008F
	v_lshlrev_b32_e32 v74, 4, v74                              // 000000002A74: 24949484
	v_add3_u32 v126, v72, v73, v74                             // 000000002A78: D1FF007E 052A9348
	v_add_u32_e32 v126, s54, v126                              // 000000002A80: 68FCFC36
	s_lshl_b32 s54, s57, 6                                     // 000000002A84: 8E368639
	v_lshrrev_b32_e32 v72, 4, v0                               // 000000002A88: 20900084
	v_lshlrev_b32_e32 v72, 4, v72                              // 000000002A8C: 24909084
	v_and_b32_e32 v73, 15, v0                                  // 000000002A90: 2692008F
	v_mul_i32_i24_e32 v73, 0x120, v73                          // 000000002A94: 0C9292FF 00000120
	v_add3_u32 v127, v72, v73, s54                             // 000000002A9C: D1FF007F 00DA9348
	v_lshrrev_b32_e32 v72, 4, v0                               // 000000002AA4: 20900084
	v_and_b32_e32 v73, 15, v0                                  // 000000002AA8: 2692008F
	v_lshlrev_b32_e32 v74, 4, v73                              // 000000002AAC: 24949284
	v_mul_i32_i24_e32 v110, 0x4000, v72                        // 000000002AB0: 0CDC90FF 00004000
	v_add_u32_e32 v110, v74, v110                              // 000000002AB8: 68DCDD4A
	v_add_u32_e32 v111, 0x10000, v110                          // 000000002ABC: 68DEDCFF 00010000
	v_mul_i32_i24_e32 v112, 0x800, v72                         // 000000002AC4: 0CE090FF 00000800
	v_add_u32_e32 v112, v74, v112                              // 000000002ACC: 68E0E14A
	v_add_u32_e32 v113, 0x2000, v112                           // 000000002AD0: 68E2E0FF 00002000
	v_add_u32_e32 v114, 0x2000, v113                           // 000000002AD8: 68E4E2FF 00002000
	v_add_u32_e32 v115, 0x2000, v114                           // 000000002AE0: 68E6E4FF 00002000
	v_mov_b32_e32 v116, 0                                      // 000000002AE8: 7EE80280
	v_mov_b32_e32 v117, 0                                      // 000000002AEC: 7EEA0280
	s_lshl_b32 s54, s57, 4                                     // 000000002AF0: 8E368439
	v_lshrrev_b32_e32 v106, 4, v0                              // 000000002AF4: 20D40084
	v_lshlrev_b32_e32 v106, 2, v106                            // 000000002AF8: 24D4D482
	v_add_u32_e32 v106, s54, v106                              // 000000002AFC: 68D4D436
	s_lshl_b32 s54, s57, 6                                     // 000000002B00: 8E368639
	v_add_u32_e32 v128, s54, v0                                // 000000002B04: 69000036
	v_lshlrev_b32_e32 v128, 2, v128                            // 000000002B08: 25010082
	v_and_b32_e32 v129, 15, v0                                 // 000000002B0C: 2702008F
	v_lshlrev_b32_e32 v129, 2, v129                            // 000000002B10: 25030282
	s_lshl_b32 s54, s57, 8                                     // 000000002B14: 8E368839
	v_and_b32_e32 v73, 15, v0                                  // 000000002B18: 2692008F
	v_lshlrev_b32_e32 v73, 4, v73                              // 000000002B1C: 24929284
	v_lshrrev_b32_e32 v74, 4, v0                               // 000000002B20: 20940084
	v_lshlrev_b32_e32 v74, 2, v74                              // 000000002B24: 24949482
	v_add3_u32 v130, v73, v74, s54                             // 000000002B28: D1FF0082 00DA9549
	v_and_b32_e32 v72, 15, v0                                  // 000000002B30: 2690008F
	v_lshlrev_b32_e32 v72, 4, v72                              // 000000002B34: 24909084
	v_lshrrev_b32_e32 v73, 4, v0                               // 000000002B38: 20920084
	v_lshlrev_b32_e32 v73, 8, v73                              // 000000002B3C: 24929288
	v_add_u32_e32 v131, v72, v73                               // 000000002B40: 69069348
	s_waitcnt lgkmcnt(0)                                       // 000000002B44: BF8CC07F

0000000000002b48 <label_0152>:
	s_cmp_lt_i32 s80, s81                                      // 000000002B48: BF045150
	s_cbranch_scc0 label_1FA7                                  // 000000002B4C: BF841E53
	s_lshl_b32 s54, s80, 5                                     // 000000002B50: 8E368550
	s_load_dwordx8 s[72:79], s[38:39], s54                     // 000000002B54: C00C1213 00000036
	v_mov_b32_e32 v96, 0xff7fffff                              // 000000002B5C: 7EC002FF FF7FFFFF
	v_mov_b64_e32 v[94:95], 0                                  // 000000002B64: 7EBC7080
	v_mov_b64_e32 v[98:99], 0                                  // 000000002B68: 7EC47080
	v_mov_b64_e32 v[70:71], 0                                  // 000000002B6C: 7E8C7080
	v_mov_b32_e32 v56, 0                                       // 000000002B70: 7E700280
	v_mov_b32_e32 v48, 0                                       // 000000002B74: 7E600280
	v_mov_b32_e32 v57, 0                                       // 000000002B78: 7E720280
	v_mov_b32_e32 v49, 0                                       // 000000002B7C: 7E620280
	v_mov_b32_e32 v58, 0                                       // 000000002B80: 7E740280
	v_mov_b32_e32 v50, 0                                       // 000000002B84: 7E640280
	v_mov_b32_e32 v59, 0                                       // 000000002B88: 7E760280
	v_mov_b32_e32 v51, 0                                       // 000000002B8C: 7E660280
	v_mov_b32_e32 v60, 0                                       // 000000002B90: 7E780280
	v_mov_b32_e32 v52, 0                                       // 000000002B94: 7E680280
	v_mov_b32_e32 v61, 0                                       // 000000002B98: 7E7A0280
	v_mov_b32_e32 v53, 0                                       // 000000002B9C: 7E6A0280
	v_mov_b32_e32 v62, 0                                       // 000000002BA0: 7E7C0280
	v_mov_b32_e32 v54, 0                                       // 000000002BA4: 7E6C0280
	v_mov_b32_e32 v63, 0                                       // 000000002BA8: 7E7E0280
	v_mov_b32_e32 v55, 0                                       // 000000002BAC: 7E6E0280
	s_waitcnt lgkmcnt(0)                                       // 000000002BB0: BF8CC07F
	s_mul_i32 s64, s76, 0x400                                  // 000000002BB4: 9240FF4C 00000400
	s_lshl_b32 s54, s72, 2                                     // 000000002BBC: 8E368248
	s_load_dword s60, s[44:45], s54                            // 000000002BC0: C0000F16 00000036
	s_load_dword s61, s[40:41], s54                            // 000000002BC8: C0000F54 00000036
	s_lshl_b32 s68, s76, 2                                     // 000000002BD0: 8E44824C
	s_cmp_lt_u32 s76, s77                                      // 000000002BD4: BF0A4D4C
	s_cselect_b32 s68, s68, 0                                  // 000000002BD8: 85448044
	s_addk_i32 s76, 0x1                                        // 000000002BDC: B74C0001
	s_load_dword s59, s[42:43], s68                            // 000000002BE0: C0000ED5 00000044
	s_and_b32 s79, s79, 0xffff                                 // 000000002BE8: 864FFF4F 0000FFFF
	v_cvt_f32_u32_e32 v72, s53                                 // 000000002BF0: 7E900C35
	s_sub_i32 s78, 0, s53                                      // 000000002BF4: 81CE3580
	v_rcp_iflag_f32_e32 v72, v72                               // 000000002BF8: 7E904748
	s_nop 0                                                    // 000000002BFC: BF800000
	v_mul_f32_e32 v72, 0x4f7ffffe, v72                         // 000000002C00: 0A9090FF 4F7FFFFE
	v_cvt_u32_f32_e32 v72, v72                                 // 000000002C08: 7E900F48
	v_mul_lo_u32 v73, s78, v72                                 // 000000002C0C: D2850049 0002904E
	v_mul_hi_u32 v73, v72, v73                                 // 000000002C14: D2860049 00029348
	v_add_u32_e32 v72, v72, v73                                // 000000002C1C: 68909348
	v_mul_hi_u32 v72, s79, v72                                 // 000000002C20: D2860048 0002904F
	v_mul_lo_u32 v73, v72, s53                                 // 000000002C28: D2850049 00006B48
	v_sub_u32_e32 v75, s79, v73                                // 000000002C30: 6A96924F
	v_add_u32_e32 v74, 1, v72                                  // 000000002C34: 68949081
	v_cmp_le_u32_e32 vcc, s53, v75                             // 000000002C38: 7D969635
	v_subrev_u32_e32 v73, s53, v75                             // 000000002C3C: 6C929635
	s_nop 0                                                    // 000000002C40: BF800000
	v_cndmask_b32_e32 v72, v72, v74, vcc                       // 000000002C44: 00909548
	v_cndmask_b32_e32 v75, v75, v73, vcc                       // 000000002C48: 0096934B
	v_add_u32_e32 v73, 1, v72                                  // 000000002C4C: 68929081
	v_cmp_le_u32_e32 vcc, s53, v75                             // 000000002C50: 7D969635
	s_nop 1                                                    // 000000002C54: BF800001
	v_cndmask_b32_e32 v75, v72, v73, vcc                       // 000000002C58: 00969348
	s_nop 3                                                    // 000000002C5C: BF800003
	v_readfirstlane_b32 s78, v75                               // 000000002C60: 7E9C054B
	s_nop 3                                                    // 000000002C64: BF800003
	s_mul_i32 s65, s53, 0x100                                  // 000000002C68: 9241FF35 00000100
	s_add_u32 s54, s52, 1                                      // 000000002C70: 80368134
	s_mul_i32 s54, s49, s54                                    // 000000002C74: 92363631
	s_mul_i32 s54, s72, s54                                    // 000000002C78: 92363648
	s_mul_i32 s55, s78, s65                                    // 000000002C7C: 9237414E
	s_add_u32 s54, s54, s55                                    // 000000002C80: 80363736
	s_add_u32 s8, s84, s54                                     // 000000002C84: 80083654
	s_addc_u32 s9, s85, 0                                      // 000000002C88: 82098055
	s_mul_i32 s54, s52, s49                                    // 000000002C8C: 92363134
	s_add_u32 s10, s54, s65                                    // 000000002C90: 800A4136
	s_add_u32 s54, s52, 1                                      // 000000002C94: 80368134
	s_mul_i32 s54, s54, s67                                    // 000000002C98: 92364336
	s_mul_i32 s54, s54, s72                                    // 000000002C9C: 92364836
	s_mul_i32 s55, s78, s65                                    // 000000002CA0: 9237414E
	s_add_u32 s54, s54, s55                                    // 000000002CA4: 80363736
	s_add_u32 s4, s82, s54                                     // 000000002CA8: 80043652
	s_addc_u32 s5, s83, 0                                      // 000000002CAC: 82058053
	s_mul_i32 s54, s52, s67                                    // 000000002CB0: 92364334
	s_add_u32 s6, s54, s65                                     // 000000002CB4: 80064136
	s_mul_i32 s55, s53, 0x200                                  // 000000002CB8: 9237FF35 00000200
	s_mul_i32 s54, s73, s48                                    // 000000002CC0: 92363049
	s_add_u32 s54, s54, s78                                    // 000000002CC4: 80364E36
	s_mul_i32 s54, s54, s55                                    // 000000002CC8: 92363736
	s_add_u32 s28, s94, s54                                    // 000000002CCC: 801C365E
	s_addc_u32 s29, s95, 0                                     // 000000002CD0: 821D805F
	s_add_u32 s54, s52, 1                                      // 000000002CD4: 80368134
	s_mul_i32 s54, s54, s48                                    // 000000002CD8: 92363036
	s_mul_i32 s30, s54, s55                                    // 000000002CDC: 921E3736
	s_mul_i32 s55, s53, 4                                      // 000000002CE0: 92378435
	s_mul_i32 s54, s73, s48                                    // 000000002CE4: 92363049
	s_add_u32 s54, s54, s78                                    // 000000002CE8: 80364E36
	s_mul_i32 s54, s54, s55                                    // 000000002CEC: 92363736
	s_add_u32 s32, s96, s54                                    // 000000002CF0: 80203660
	s_addc_u32 s33, s97, 0                                     // 000000002CF4: 82218061
	s_add_u32 s54, s52, 1                                      // 000000002CF8: 80368134
	s_mul_i32 s54, s54, s48                                    // 000000002CFC: 92363036
	s_mul_i32 s34, s54, s55                                    // 000000002D00: 92223736
	buffer_load_dwordx4 v[4:7], v108, s[8:11], 0 offen         // 000000002D04: E05C1000 8002046C
	s_waitcnt lgkmcnt(0)                                       // 000000002D0C: BF8CC07F
	s_mul_i32 s54, s60, 0x400                                  // 000000002D10: 9236FF3C 00000400
	s_sub_i32 s64, s64, s54                                    // 000000002D18: 81C03640
	s_mul_i32 s69, s59, s50                                    // 000000002D1C: 9245323B
	s_mul_i32 s71, s59, s66                                    // 000000002D20: 9247423B
	s_mul_i32 s54, s78, s51                                    // 000000002D24: 9236334E
	s_add_u32 s69, s69, s54                                    // 000000002D28: 80453645
	s_mov_b32 s70, s69                                         // 000000002D2C: BEC60045
	s_mul_i32 s54, s78, 4                                      // 000000002D30: 9236844E
	s_add_u32 s71, s71, s54                                    // 000000002D34: 80473647
	s_add_u32 s12, s86, s69                                    // 000000002D38: 800C4556
	s_addc_u32 s13, s87, 0                                     // 000000002D3C: 820D8057
	s_add_u32 s16, s88, s70                                    // 000000002D40: 80104658
	s_addc_u32 s17, s89, 0                                     // 000000002D44: 82118059
	s_add_u32 s20, s90, s71                                    // 000000002D48: 8014475A
	s_addc_u32 s21, s91, 0                                     // 000000002D4C: 8215805B
	s_add_u32 s24, s92, s71                                    // 000000002D50: 8018475C
	s_addc_u32 s25, s93, 0                                     // 000000002D54: 8219805D
	s_add_u32 s69, s69, 0x1000                                 // 000000002D58: 8045FF45 00001000
	s_add_u32 s70, s70, 0x8000                                 // 000000002D60: 8046FF46 00008000
	buffer_load_dwordx4 a[0:3], v110, s[12:15], 0 offen        // 000000002D68: E05C1000 8083006E
	buffer_load_dwordx4 a[4:7], v111, s[12:15], 0 offen        // 000000002D70: E05C1000 8083046F
	buffer_load_dwordx4 a[8:11], v110, s[12:15], 0 offen offset:1024// 000000002D78: E05C1400 8083086E
	buffer_load_dwordx4 a[12:15], v111, s[12:15], 0 offen offset:1024// 000000002D80: E05C1400 80830C6F
	buffer_load_dwordx4 a[16:19], v110, s[12:15], 0 offen offset:2048// 000000002D88: E05C1800 8083106E
	buffer_load_dwordx4 a[20:23], v111, s[12:15], 0 offen offset:2048// 000000002D90: E05C1800 8083146F
	buffer_load_dwordx4 a[24:27], v110, s[12:15], 0 offen offset:3072// 000000002D98: E05C1C00 8083186E
	buffer_load_dwordx4 a[28:31], v111, s[12:15], 0 offen offset:3072// 000000002DA0: E05C1C00 80831C6F
	buffer_load_dword v66, v116, s[20:23], 0 offen             // 000000002DA8: E0501000 80054274
	buffer_load_dword v68, v117, s[24:27], 0 offen             // 000000002DB0: E0501000 80064475
	buffer_load_dwordx4 a[64:67], v112, s[16:19], 0 offen      // 000000002DB8: E05C1000 80844070
	buffer_load_dwordx4 a[68:71], v113, s[16:19], 0 offen      // 000000002DC0: E05C1000 80844471
	buffer_load_dwordx4 a[72:75], v114, s[16:19], 0 offen      // 000000002DC8: E05C1000 80844872
	buffer_load_dwordx4 a[76:79], v115, s[16:19], 0 offen      // 000000002DD0: E05C1000 80844C73
	buffer_load_dwordx4 a[80:83], v112, s[16:19], 0 offen offset:1024// 000000002DD8: E05C1400 80845070
	buffer_load_dwordx4 a[84:87], v113, s[16:19], 0 offen offset:1024// 000000002DE0: E05C1400 80845471
	buffer_load_dwordx4 a[88:91], v114, s[16:19], 0 offen offset:1024// 000000002DE8: E05C1400 80845872
	buffer_load_dwordx4 a[92:95], v115, s[16:19], 0 offen offset:1024// 000000002DF0: E05C1400 80845C73
	s_sub_i32 s54, s77, s60                                    // 000000002DF8: 81B63C4D
	s_mul_i32 s62, s54, 0x400                                  // 000000002DFC: 923EFF36 00000400
	s_cmp_lt_i32 s62, s61                                      // 000000002E04: BF043D3E
	s_cselect_b32 s62, s62, s61                                // 000000002E08: 853E3D3E
	s_sub_i32 s54, s61, s52                                    // 000000002E0C: 81B6343D
	v_and_b32_e32 v76, 15, v0                                  // 000000002E10: 2698008F
	s_cmp_lt_i32 s62, s54                                      // 000000002E14: BF04363E
	s_cselect_b32 s63, s62, s54                                // 000000002E18: 853F363E
	s_and_b32 s63, s63, 0xffffff00                             // 000000002E1C: 863FFF3F FFFFFF00
	v_cvt_f32_u32_e32 v72, s53                                 // 000000002E24: 7E900C35
	v_sub_i32 v78, 0, s53                                      // 000000002E28: D29D004E 00006A80
	v_rcp_iflag_f32_e32 v72, v72                               // 000000002E30: 7E904748
	s_nop 0                                                    // 000000002E34: BF800000
	v_mul_f32_e32 v72, 0x4f7ffffe, v72                         // 000000002E38: 0A9090FF 4F7FFFFE
	v_cvt_u32_f32_e32 v72, v72                                 // 000000002E40: 7E900F48
	v_mul_lo_u32 v73, v78, v72                                 // 000000002E44: D2850049 0002914E
	v_mul_hi_u32 v73, v72, v73                                 // 000000002E4C: D2860049 00029348
	v_add_u32_e32 v72, v72, v73                                // 000000002E54: 68909348
	v_mul_hi_u32 v72, v76, v72                                 // 000000002E58: D2860048 0002914C
	v_mul_lo_u32 v73, v72, s53                                 // 000000002E60: D2850049 00006B48
	v_sub_u32_e32 v75, v76, v73                                // 000000002E68: 6A96934C
	v_add_u32_e32 v74, 1, v72                                  // 000000002E6C: 68949081
	v_cmp_le_u32_e32 vcc, s53, v75                             // 000000002E70: 7D969635
	v_subrev_u32_e32 v73, s53, v75                             // 000000002E74: 6C929635
	s_nop 0                                                    // 000000002E78: BF800000
	v_cndmask_b32_e32 v72, v72, v74, vcc                       // 000000002E7C: 00909548
	v_cndmask_b32_e32 v75, v75, v73, vcc                       // 000000002E80: 0096934B
	v_add_u32_e32 v73, 1, v72                                  // 000000002E84: 68929081
	v_cmp_le_u32_e32 vcc, s53, v75                             // 000000002E88: 7D969635
	s_nop 1                                                    // 000000002E8C: BF800001
	v_cndmask_b32_e32 v78, v72, v73, vcc                       // 000000002E90: 009C9348
	v_add_u32_e32 v105, s54, v78                               // 000000002E94: 68D29C36
	v_cmp_lt_u32_e32 vcc, s62, v105                            // 000000002E98: 7D92D23E
	v_mov_b32_e32 v72, s62                                     // 000000002E9C: 7E90023E
	v_cndmask_b32_e32 v105, v105, v72, vcc                     // 000000002EA0: 00D29169
	s_waitcnt vmcnt(18)                                        // 000000002EA4: BF8C4F72
	v_lshlrev_b32_e32 v8, 16, v4                               // 000000002EA8: 24100890
	v_and_b32_e32 v9, 0xffff0000, v4                           // 000000002EAC: 261208FF FFFF0000
	v_lshlrev_b32_e32 v10, 16, v5                              // 000000002EB4: 24140A90
	v_and_b32_e32 v11, 0xffff0000, v5                          // 000000002EB8: 26160AFF FFFF0000
	v_lshlrev_b32_e32 v12, 16, v6                              // 000000002EC0: 24180C90
	v_and_b32_e32 v13, 0xffff0000, v6                          // 000000002EC4: 261A0CFF FFFF0000
	v_lshlrev_b32_e32 v14, 16, v7                              // 000000002ECC: 241C0E90
	v_and_b32_e32 v15, 0xffff0000, v7                          // 000000002ED0: 261E0EFF FFFF0000
	v_mov_b32_e32 v92, 0x358637bd                              // 000000002ED8: 7EB802FF 358637BD
	v_max3_f32 v92, |v8|, |v9|, v92                            // 000000002EE0: D1D3035C 05721308
	v_max3_f32 v92, |v10|, |v11|, v92                          // 000000002EE8: D1D3035C 0572170A
	v_max3_f32 v92, |v12|, |v13|, v92                          // 000000002EF0: D1D3035C 05721B0C
	v_max3_f32 v92, |v14|, |v15|, v92                          // 000000002EF8: D1D3035C 05721F0E
	ds_write_b32 v122, v92 offset:1280                         // 000000002F00: D81A0500 00005C7A
	s_waitcnt lgkmcnt(0)                                       // 000000002F08: BF8CC07F
	s_barrier                                                  // 000000002F0C: BF8A0000
	ds_read_b32 v76, v123 offset:1280                          // 000000002F10: D86C0500 4C00007B
	ds_read_b32 v77, v123 offset:1360                          // 000000002F18: D86C0550 4D00007B
	ds_read_b32 v78, v123 offset:1440                          // 000000002F20: D86C05A0 4E00007B
	ds_read_b32 v79, v123 offset:1520                          // 000000002F28: D86C05F0 4F00007B
	ds_read_b32 v80, v123 offset:1600                          // 000000002F30: D86C0640 5000007B
	ds_read_b32 v81, v123 offset:1680                          // 000000002F38: D86C0690 5100007B
	ds_read_b32 v82, v123 offset:1760                          // 000000002F40: D86C06E0 5200007B
	ds_read_b32 v83, v123 offset:1840                          // 000000002F48: D86C0730 5300007B
	ds_read_b32 v84, v123 offset:1920                          // 000000002F50: D86C0780 5400007B
	ds_read_b32 v85, v123 offset:2000                          // 000000002F58: D86C07D0 5500007B
	ds_read_b32 v86, v123 offset:2080                          // 000000002F60: D86C0820 5600007B
	ds_read_b32 v87, v123 offset:2160                          // 000000002F68: D86C0870 5700007B
	ds_read_b32 v88, v123 offset:2240                          // 000000002F70: D86C08C0 5800007B
	ds_read_b32 v89, v123 offset:2320                          // 000000002F78: D86C0910 5900007B
	ds_read_b32 v90, v123 offset:2400                          // 000000002F80: D86C0960 5A00007B
	ds_read_b32 v91, v123 offset:2480                          // 000000002F88: D86C09B0 5B00007B
	s_waitcnt lgkmcnt(0)                                       // 000000002F90: BF8CC07F
	v_mov_b32_e32 v92, 0x358637bd                              // 000000002F94: 7EB802FF 358637BD
	v_max3_f32 v92, v76, v77, v92                              // 000000002F9C: D1D3005C 05729B4C
	v_max3_f32 v92, v78, v79, v92                              // 000000002FA4: D1D3005C 05729F4E
	v_max3_f32 v92, v80, v81, v92                              // 000000002FAC: D1D3005C 0572A350
	v_max3_f32 v92, v82, v83, v92                              // 000000002FB4: D1D3005C 0572A752
	v_max3_f32 v92, v84, v85, v92                              // 000000002FBC: D1D3005C 0572AB54
	v_max3_f32 v92, v86, v87, v92                              // 000000002FC4: D1D3005C 0572AF56
	v_max3_f32 v92, v88, v89, v92                              // 000000002FCC: D1D3005C 0572B358
	v_max3_f32 v92, v90, v91, v92                              // 000000002FD4: D1D3005C 0572B75A
	v_rcp_f32_e32 v92, v92                                     // 000000002FDC: 7EB8455C
	s_lshl_b32 s54, s57, 2                                     // 000000002FE0: 8E368239
	v_lshrrev_b32_e32 v74, 4, v0                               // 000000002FE4: 20940084
	v_add_u32_e32 v74, s54, v74                                // 000000002FE8: 68949436
	v_lshlrev_b32_e32 v74, 2, v74                              // 000000002FEC: 24949482
	v_mul_f32_e32 v92, 0x43700000, v92                         // 000000002FF0: 0AB8B8FF 43700000
	ds_bpermute_b32 v72, v74, v92                              // 000000002FF8: D87E0000 48005C4A
	s_waitcnt lgkmcnt(0)                                       // 000000003000: BF8CC07F
	v_mul_f32_e32 v8, v8, v72                                  // 000000003004: 0A109108
	v_mul_f32_e32 v9, v9, v72                                  // 000000003008: 0A129109
	v_mul_f32_e32 v10, v10, v72                                // 00000000300C: 0A14910A
	v_mul_f32_e32 v11, v11, v72                                // 000000003010: 0A16910B
	v_mul_f32_e32 v12, v12, v72                                // 000000003014: 0A18910C
	v_mul_f32_e32 v13, v13, v72                                // 000000003018: 0A1A910D
	v_mul_f32_e32 v14, v14, v72                                // 00000000301C: 0A1C910E
	v_mul_f32_e32 v15, v15, v72                                // 000000003020: 0A1E910F
	v_cvt_pk_fp8_f32 v8, v8, v9                                // 000000003024: D2A20008 00021308
	v_cvt_pk_fp8_f32 v8, v10, v11 op_sel:[0,0,1]               // 00000000302C: D2A24008 0002170A
	v_cvt_pk_fp8_f32 v9, v12, v13                              // 000000003034: D2A20009 00021B0C
	v_cvt_pk_fp8_f32 v9, v14, v15 op_sel:[0,0,1]               // 00000000303C: D2A24009 00021F0E
	ds_write_b64 v124, v[8:9] offset:2560                      // 000000003044: D89A0A00 0000087C
	v_rcp_f32_e32 v64, v92                                     // 00000000304C: 7E80455C
	s_nop 0                                                    // 000000003050: BF800000
	v_mov_b32_e32 v65, v64                                     // 000000003054: 7E820340
	s_waitcnt lgkmcnt(0)                                       // 000000003058: BF8CC07F
	s_barrier                                                  // 00000000305C: BF8A0000
	ds_read_b128 v[8:11], v125 offset:2560                     // 000000003060: D9FE0A00 0800007D
	ds_read_b128 v[12:15], v125 offset:2624                    // 000000003068: D9FE0A40 0C00007D
	s_waitcnt lgkmcnt(0)                                       // 000000003070: BF8CC07F
	s_cmp_lt_i32 s57, 2                                        // 000000003074: BF048239
	s_cbranch_scc0 label_0959                                  // 000000003078: BF8406BA

000000000000307c <label_029F>:
	s_cmp_lt_i32 s64, s63                                      // 00000000307C: BF043F40
	s_cbranch_scc0 label_1013                                  // 000000003080: BF840D72
	s_waitcnt vmcnt(10)                                        // 000000003084: BF8C0F7A
	v_mfma_f32_16x16x32_fp8_fp8 v[16:19], a[0:1], v[8:9], 0    // 000000003088: D3F30010 0A021100
	s_add_u32 s12, s86, s69                                    // 000000003090: 800C4556
	s_addc_u32 s13, s87, 0                                     // 000000003094: 820D8057
	v_mfma_f32_16x16x32_fp8_fp8 v[16:19], a[2:3], v[10:11], v[16:19]// 000000003098: D3F30010 0C421502
	s_add_u32 s16, s88, s70                                    // 0000000030A0: 80104658
	s_addc_u32 s17, s89, 0                                     // 0000000030A4: 82118059
	v_mfma_f32_16x16x32_fp8_fp8 v[16:19], a[4:5], v[12:13], v[16:19]// 0000000030A8: D3F30010 0C421904
	buffer_load_dwordx4 a[32:35], v110, s[12:15], 0 offen      // 0000000030B0: E05C1000 8083206E
	v_mfma_f32_16x16x32_fp8_fp8 v[16:19], a[6:7], v[14:15], v[16:19]// 0000000030B8: D3F30010 0C421D06
	s_add_u32 s20, s90, s71                                    // 0000000030C0: 8014475A
	s_addc_u32 s21, s91, 0                                     // 0000000030C4: 8215805B
	v_mfma_f32_16x16x32_fp8_fp8 v[20:23], a[8:9], v[8:9], 0    // 0000000030C8: D3F30014 0A021108
	s_add_u32 s24, s92, s71                                    // 0000000030D0: 8018475C
	s_addc_u32 s25, s93, 0                                     // 0000000030D4: 8219805D
	v_mfma_f32_16x16x32_fp8_fp8 v[20:23], a[10:11], v[10:11], v[20:23]// 0000000030D8: D3F30014 0C52150A
	s_add_u32 s69, s69, 0x1000                                 // 0000000030E0: 8045FF45 00001000
	s_add_u32 s70, s70, 0x8000                                 // 0000000030E8: 8046FF46 00008000
	v_mfma_f32_16x16x32_fp8_fp8 v[20:23], a[12:13], v[12:13], v[20:23]// 0000000030F0: D3F30014 0C52190C
	buffer_load_dwordx4 a[36:39], v111, s[12:15], 0 offen      // 0000000030F8: E05C1000 8083246F
	v_mfma_f32_16x16x32_fp8_fp8 v[20:23], a[14:15], v[14:15], v[20:23]// 000000003100: D3F30014 0C521D0E
	v_mfma_f32_16x16x32_fp8_fp8 v[24:27], a[16:17], v[8:9], 0  // 000000003108: D3F30018 0A021110
	v_mfma_f32_16x16x32_fp8_fp8 v[24:27], a[18:19], v[10:11], v[24:27]// 000000003110: D3F30018 0C621512
	v_mfma_f32_16x16x32_fp8_fp8 v[24:27], a[20:21], v[12:13], v[24:27]// 000000003118: D3F30018 0C621914
	buffer_load_dwordx4 a[40:43], v110, s[12:15], 0 offen offset:1024// 000000003120: E05C1400 8083286E
	v_mfma_f32_16x16x32_fp8_fp8 v[24:27], a[22:23], v[14:15], v[24:27]// 000000003128: D3F30018 0C621D16
	v_mfma_f32_16x16x32_fp8_fp8 v[28:31], a[24:25], v[8:9], 0  // 000000003130: D3F3001C 0A021118
	v_mfma_f32_16x16x32_fp8_fp8 v[28:31], a[26:27], v[10:11], v[28:31]// 000000003138: D3F3001C 0C72151A
	v_mfma_f32_16x16x32_fp8_fp8 v[28:31], a[28:29], v[12:13], v[28:31]// 000000003140: D3F3001C 0C72191C
	buffer_load_dwordx4 a[44:47], v111, s[12:15], 0 offen offset:1024// 000000003148: E05C1400 80832C6F
	v_mfma_f32_16x16x32_fp8_fp8 v[28:31], a[30:31], v[14:15], v[28:31]// 000000003150: D3F3001C 0C721D1E
	s_waitcnt vmcnt(12)                                        // 000000003158: BF8C0F7C
	v_pk_mul_f32 v[16:17], v[64:65], v[16:17]                  // 00000000315C: D3B14010 18022140
	v_pk_mul_f32 v[18:19], v[64:65], v[18:19]                  // 000000003164: D3B14012 18022540
	v_mul_f32_dpp v16, v66, v16 row_newbcast:0 row_mask:0xf bank_mask:0xf// 00000000316C: 0A2020FA FF015042
	v_mul_f32_dpp v17, v66, v17 row_newbcast:1 row_mask:0xf bank_mask:0xf// 000000003174: 0A2222FA FF015142
	v_mul_f32_dpp v18, v66, v18 row_newbcast:2 row_mask:0xf bank_mask:0xf// 00000000317C: 0A2424FA FF015242
	v_mul_f32_dpp v19, v66, v19 row_newbcast:3 row_mask:0xf bank_mask:0xf// 000000003184: 0A2626FA FF015342
	v_pk_mul_f32 v[20:21], v[64:65], v[20:21]                  // 00000000318C: D3B14014 18022940
	v_pk_mul_f32 v[22:23], v[64:65], v[22:23]                  // 000000003194: D3B14016 18022D40
	v_mul_f32_dpp v20, v66, v20 row_newbcast:4 row_mask:0xf bank_mask:0xf// 00000000319C: 0A2828FA FF015442
	v_mul_f32_dpp v21, v66, v21 row_newbcast:5 row_mask:0xf bank_mask:0xf// 0000000031A4: 0A2A2AFA FF015542
	v_mul_f32_dpp v22, v66, v22 row_newbcast:6 row_mask:0xf bank_mask:0xf// 0000000031AC: 0A2C2CFA FF015642
	v_mul_f32_dpp v23, v66, v23 row_newbcast:7 row_mask:0xf bank_mask:0xf// 0000000031B4: 0A2E2EFA FF015742
	v_pk_mul_f32 v[24:25], v[64:65], v[24:25]                  // 0000000031BC: D3B14018 18023140
	v_pk_mul_f32 v[26:27], v[64:65], v[26:27]                  // 0000000031C4: D3B1401A 18023540
	v_mul_f32_dpp v24, v66, v24 row_newbcast:8 row_mask:0xf bank_mask:0xf// 0000000031CC: 0A3030FA FF015842
	v_mul_f32_dpp v25, v66, v25 row_newbcast:9 row_mask:0xf bank_mask:0xf// 0000000031D4: 0A3232FA FF015942
	v_mul_f32_dpp v26, v66, v26 row_newbcast:10 row_mask:0xf bank_mask:0xf// 0000000031DC: 0A3434FA FF015A42
	v_mul_f32_dpp v27, v66, v27 row_newbcast:11 row_mask:0xf bank_mask:0xf// 0000000031E4: 0A3636FA FF015B42
	v_pk_mul_f32 v[28:29], v[64:65], v[28:29]                  // 0000000031EC: D3B1401C 18023940
	v_pk_mul_f32 v[30:31], v[64:65], v[30:31]                  // 0000000031F4: D3B1401E 18023D40
	v_mul_f32_dpp v28, v66, v28 row_newbcast:12 row_mask:0xf bank_mask:0xf// 0000000031FC: 0A3838FA FF015C42
	v_mul_f32_dpp v29, v66, v29 row_newbcast:13 row_mask:0xf bank_mask:0xf// 000000003204: 0A3A3AFA FF015D42
	v_mul_f32_dpp v30, v66, v30 row_newbcast:14 row_mask:0xf bank_mask:0xf// 00000000320C: 0A3C3CFA FF015E42
	v_mul_f32_dpp v31, v66, v31 row_newbcast:15 row_mask:0xf bank_mask:0xf// 000000003214: 0A3E3EFA FF015F42
	buffer_load_dwordx4 a[48:51], v110, s[12:15], 0 offen offset:2048// 00000000321C: E05C1800 8083306E
	v_mov_b32_e32 v92, v16                                     // 000000003224: 7EB80310
	v_max3_f32 v92, v16, v17, v92                              // 000000003228: D1D3005C 05722310
	v_max3_f32 v92, v18, v19, v92                              // 000000003230: D1D3005C 05722712
	v_max3_f32 v92, v20, v21, v92                              // 000000003238: D1D3005C 05722B14
	v_max3_f32 v92, v22, v23, v92                              // 000000003240: D1D3005C 05722F16
	v_max3_f32 v92, v24, v25, v92                              // 000000003248: D1D3005C 05723318
	v_max3_f32 v92, v26, v27, v92                              // 000000003250: D1D3005C 0572371A
	v_max3_f32 v92, v28, v29, v92                              // 000000003258: D1D3005C 05723B1C
	v_max3_f32 v92, v30, v31, v92                              // 000000003260: D1D3005C 05723F1E
	ds_write_b32 v128, v92                                     // 000000003268: D81A0000 00005C80
	v_pk_mul_f32 v[56:57], v[94:95], v[56:57]                  // 000000003270: D3B14038 1802715E
	v_pk_mul_f32 v[58:59], v[94:95], v[58:59]                  // 000000003278: D3B1403A 1802755E
	v_pk_mul_f32 v[60:61], v[94:95], v[60:61]                  // 000000003280: D3B1403C 1802795E
	v_pk_mul_f32 v[62:63], v[94:95], v[62:63]                  // 000000003288: D3B1403E 18027D5E
	buffer_load_dwordx4 a[52:55], v111, s[12:15], 0 offen offset:2048// 000000003290: E05C1800 8083346F
	s_waitcnt lgkmcnt(0)                                       // 000000003298: BF8CC07F
	s_barrier                                                  // 00000000329C: BF8A0000
	ds_read_b32 v76, v129                                      // 0000000032A0: D86C0000 4C000081
	ds_read_b32 v77, v129 offset:64                            // 0000000032A8: D86C0040 4D000081
	ds_read_b32 v78, v129 offset:128                           // 0000000032B0: D86C0080 4E000081
	ds_read_b32 v79, v129 offset:192                           // 0000000032B8: D86C00C0 4F000081
	ds_read_b32 v80, v129 offset:256                           // 0000000032C0: D86C0100 50000081
	ds_read_b32 v81, v129 offset:320                           // 0000000032C8: D86C0140 51000081
	ds_read_b32 v82, v129 offset:384                           // 0000000032D0: D86C0180 52000081
	ds_read_b32 v83, v129 offset:448                           // 0000000032D8: D86C01C0 53000081
	ds_read_b32 v84, v129 offset:512                           // 0000000032E0: D86C0200 54000081
	ds_read_b32 v85, v129 offset:576                           // 0000000032E8: D86C0240 55000081
	ds_read_b32 v86, v129 offset:640                           // 0000000032F0: D86C0280 56000081
	ds_read_b32 v87, v129 offset:704                           // 0000000032F8: D86C02C0 57000081
	ds_read_b32 v88, v129 offset:768                           // 000000003300: D86C0300 58000081
	ds_read_b32 v89, v129 offset:832                           // 000000003308: D86C0340 59000081
	ds_read_b32 v90, v129 offset:896                           // 000000003310: D86C0380 5A000081
	ds_read_b32 v91, v129 offset:960                           // 000000003318: D86C03C0 5B000081
	buffer_load_dwordx4 a[60:63], v111, s[12:15], 0 offen offset:3072// 000000003320: E05C1C00 80833C6F
	v_pk_mul_f32 v[48:49], v[70:71], v[48:49]                  // 000000003328: D3B14030 18026146
	v_pk_mul_f32 v[50:51], v[70:71], v[50:51]                  // 000000003330: D3B14032 18026546
	v_pk_mul_f32 v[52:53], v[70:71], v[52:53]                  // 000000003338: D3B14034 18026946
	v_pk_mul_f32 v[54:55], v[70:71], v[54:55]                  // 000000003340: D3B14036 18026D46
	buffer_load_dwordx4 a[56:59], v110, s[12:15], 0 offen offset:3072// 000000003348: E05C1C00 8083386E
	s_waitcnt lgkmcnt(0)                                       // 000000003350: BF8CC07F
	v_max3_f32 v92, v76, v77, v92                              // 000000003354: D1D3005C 05729B4C
	v_max3_f32 v92, v78, v79, v92                              // 00000000335C: D1D3005C 05729F4E
	v_max3_f32 v92, v80, v81, v92                              // 000000003364: D1D3005C 0572A350
	v_max3_f32 v92, v82, v83, v92                              // 00000000336C: D1D3005C 0572A752
	v_max3_f32 v92, v84, v85, v92                              // 000000003374: D1D3005C 0572AB54
	v_max3_f32 v92, v86, v87, v92                              // 00000000337C: D1D3005C 0572AF56
	v_max3_f32 v92, v88, v89, v92                              // 000000003384: D1D3005C 0572B358
	v_max3_f32 v92, v90, v91, v92                              // 00000000338C: D1D3005C 0572B75A
	v_max_f32_e32 v97, v92, v96                                // 000000003394: 16C2C15C
	v_mul_f32_e64 v72, -s46, v97                               // 000000003398: D1050048 2002C22E
	v_mov_b32_e32 v73, v72                                     // 0000000033A0: 7E920348
	v_pk_fma_f32 v[16:17], v[16:17], s[46:47], v[72:73]        // 0000000033A4: D3B04010 1D205D10
	v_pk_fma_f32 v[18:19], v[18:19], s[46:47], v[72:73]        // 0000000033AC: D3B04012 1D205D12
	v_exp_f32_e32 v16, v16                                     // 0000000033B4: 7E204110
	v_exp_f32_e32 v17, v17                                     // 0000000033B8: 7E224111
	v_exp_f32_e32 v18, v18                                     // 0000000033BC: 7E244112
	v_exp_f32_e32 v19, v19                                     // 0000000033C0: 7E264113
	v_pk_fma_f32 v[20:21], v[20:21], s[46:47], v[72:73]        // 0000000033C4: D3B04014 1D205D14
	v_pk_fma_f32 v[22:23], v[22:23], s[46:47], v[72:73]        // 0000000033CC: D3B04016 1D205D16
	v_exp_f32_e32 v20, v20                                     // 0000000033D4: 7E284114
	v_exp_f32_e32 v21, v21                                     // 0000000033D8: 7E2A4115
	v_exp_f32_e32 v22, v22                                     // 0000000033DC: 7E2C4116
	v_exp_f32_e32 v23, v23                                     // 0000000033E0: 7E2E4117
	v_pk_fma_f32 v[24:25], v[24:25], s[46:47], v[72:73]        // 0000000033E4: D3B04018 1D205D18
	v_pk_fma_f32 v[26:27], v[26:27], s[46:47], v[72:73]        // 0000000033EC: D3B0401A 1D205D1A
	v_exp_f32_e32 v24, v24                                     // 0000000033F4: 7E304118
	v_exp_f32_e32 v25, v25                                     // 0000000033F8: 7E324119
	v_exp_f32_e32 v26, v26                                     // 0000000033FC: 7E34411A
	v_exp_f32_e32 v27, v27                                     // 000000003400: 7E36411B
	v_pk_fma_f32 v[28:29], v[28:29], s[46:47], v[72:73]        // 000000003404: D3B0401C 1D205D1C
	v_pk_fma_f32 v[30:31], v[30:31], s[46:47], v[72:73]        // 00000000340C: D3B0401E 1D205D1E
	v_exp_f32_e32 v28, v28                                     // 000000003414: 7E38411C
	v_exp_f32_e32 v29, v29                                     // 000000003418: 7E3A411D
	v_exp_f32_e32 v30, v30                                     // 00000000341C: 7E3C411E
	v_exp_f32_e32 v31, v31                                     // 000000003420: 7E3E411F
	v_mul_f32_dpp v32, v68, v16 row_newbcast:0 row_mask:0xf bank_mask:0xf// 000000003424: 0A4020FA FF015044
	v_mul_f32_dpp v33, v68, v17 row_newbcast:1 row_mask:0xf bank_mask:0xf// 00000000342C: 0A4222FA FF015144
	v_mul_f32_dpp v34, v68, v18 row_newbcast:2 row_mask:0xf bank_mask:0xf// 000000003434: 0A4424FA FF015244
	v_mul_f32_dpp v35, v68, v19 row_newbcast:3 row_mask:0xf bank_mask:0xf// 00000000343C: 0A4626FA FF015344
	v_mul_f32_dpp v36, v68, v20 row_newbcast:4 row_mask:0xf bank_mask:0xf// 000000003444: 0A4828FA FF015444
	v_mul_f32_dpp v37, v68, v21 row_newbcast:5 row_mask:0xf bank_mask:0xf// 00000000344C: 0A4A2AFA FF015544
	v_mul_f32_dpp v38, v68, v22 row_newbcast:6 row_mask:0xf bank_mask:0xf// 000000003454: 0A4C2CFA FF015644
	v_mul_f32_dpp v39, v68, v23 row_newbcast:7 row_mask:0xf bank_mask:0xf// 00000000345C: 0A4E2EFA FF015744
	v_mul_f32_dpp v40, v68, v24 row_newbcast:8 row_mask:0xf bank_mask:0xf// 000000003464: 0A5030FA FF015844
	v_mul_f32_dpp v41, v68, v25 row_newbcast:9 row_mask:0xf bank_mask:0xf// 00000000346C: 0A5232FA FF015944
	v_mul_f32_dpp v42, v68, v26 row_newbcast:10 row_mask:0xf bank_mask:0xf// 000000003474: 0A5434FA FF015A44
	v_mul_f32_dpp v43, v68, v27 row_newbcast:11 row_mask:0xf bank_mask:0xf// 00000000347C: 0A5636FA FF015B44
	v_mul_f32_dpp v44, v68, v28 row_newbcast:12 row_mask:0xf bank_mask:0xf// 000000003484: 0A5838FA FF015C44
	v_mul_f32_dpp v45, v68, v29 row_newbcast:13 row_mask:0xf bank_mask:0xf// 00000000348C: 0A5A3AFA FF015D44
	v_mul_f32_dpp v46, v68, v30 row_newbcast:14 row_mask:0xf bank_mask:0xf// 000000003494: 0A5C3CFA FF015E44
	v_mul_f32_dpp v47, v68, v31 row_newbcast:15 row_mask:0xf bank_mask:0xf// 00000000349C: 0A5E3EFA FF015F44
	buffer_load_dword v67, v116, s[20:23], 0 offen             // 0000000034A4: E0501000 80054374
	v_sub_f32_e32 v94, v96, v97                                // 0000000034AC: 04BCC360
	v_cmp_eq_u32_e64 s[98:99], v107, v96                       // 0000000034B0: D0CA0062 0002C16B
	s_nop 0                                                    // 0000000034B8: BF800000
	v_cndmask_b32_e64 v94, v94, 0, s[98:99]                    // 0000000034BC: D100005E 0189015E
	v_mov_b32_e32 v96, v97                                     // 0000000034C4: 7EC00361
	v_mul_f32_e32 v94, s46, v94                                // 0000000034C8: 0ABCBC2E
	v_exp_f32_e32 v94, v94                                     // 0000000034CC: 7EBC415E
	s_nop 0                                                    // 0000000034D0: BF800000
	v_mov_b32_e32 v95, v94                                     // 0000000034D4: 7EBE035E
	buffer_load_dword v69, v117, s[24:27], 0 offen             // 0000000034D8: E0501000 80064575
	s_waitcnt lgkmcnt(0)                                       // 0000000034E0: BF8CC07F
	s_barrier                                                  // 0000000034E4: BF8A0000
	buffer_load_dwordx4 a[96:99], v112, s[16:19], 0 offen      // 0000000034E8: E05C1000 80846070
	v_mul_f32_e32 v98, v94, v98                                // 0000000034F0: 0AC4C55E
	v_add_f32_e32 v98, v16, v98                                // 0000000034F4: 02C4C510
	v_add_f32_e32 v98, v17, v98                                // 0000000034F8: 02C4C511
	v_add_f32_e32 v98, v18, v98                                // 0000000034FC: 02C4C512
	v_add_f32_e32 v98, v19, v98                                // 000000003500: 02C4C513
	v_add_f32_e32 v98, v20, v98                                // 000000003504: 02C4C514
	v_add_f32_e32 v98, v21, v98                                // 000000003508: 02C4C515
	v_add_f32_e32 v98, v22, v98                                // 00000000350C: 02C4C516
	v_add_f32_e32 v98, v23, v98                                // 000000003510: 02C4C517
	v_add_f32_e32 v98, v24, v98                                // 000000003514: 02C4C518
	v_add_f32_e32 v98, v25, v98                                // 000000003518: 02C4C519
	v_add_f32_e32 v98, v26, v98                                // 00000000351C: 02C4C51A
	v_add_f32_e32 v98, v27, v98                                // 000000003520: 02C4C51B
	v_add_f32_e32 v98, v28, v98                                // 000000003524: 02C4C51C
	v_add_f32_e32 v98, v29, v98                                // 000000003528: 02C4C51D
	v_add_f32_e32 v98, v30, v98                                // 00000000352C: 02C4C51E
	v_add_f32_e32 v98, v31, v98                                // 000000003530: 02C4C51F
	buffer_load_dwordx4 a[100:103], v113, s[16:19], 0 offen    // 000000003534: E05C1000 80846471
	s_waitcnt lgkmcnt(0)                                       // 00000000353C: BF8CC07F
	v_sub_f32_e32 v92, v92, v96                                // 000000003540: 04B8C15C
	v_mul_f32_e32 v92, s46, v92                                // 000000003544: 0AB8B82E
	v_exp_f32_e32 v92, v92                                     // 000000003548: 7EB8415C
	s_nop 0                                                    // 00000000354C: BF800000
	v_mul_f32_e32 v92, v68, v92                                // 000000003550: 0AB8B944
	v_add_f32_e32 v92, 0x3089705f, v92                         // 000000003554: 02B8B8FF 3089705F
	v_rcp_f32_e32 v92, v92                                     // 00000000355C: 7EB8455C
	s_nop 0                                                    // 000000003560: BF800000
	v_mul_f32_e32 v92, 0x43700000, v92                         // 000000003564: 0AB8B8FF 43700000
	v_mov_b32_e32 v93, v92                                     // 00000000356C: 7EBA035C
	v_pk_mul_f32 v[16:17], v[92:93], v[32:33]                  // 000000003570: D3B14010 1802415C
	v_pk_mul_f32 v[18:19], v[92:93], v[34:35]                  // 000000003578: D3B14012 1802455C
	v_pk_mul_f32 v[20:21], v[92:93], v[36:37]                  // 000000003580: D3B14014 1802495C
	v_pk_mul_f32 v[22:23], v[92:93], v[38:39]                  // 000000003588: D3B14016 18024D5C
	v_pk_mul_f32 v[24:25], v[92:93], v[40:41]                  // 000000003590: D3B14018 1802515C
	v_pk_mul_f32 v[26:27], v[92:93], v[42:43]                  // 000000003598: D3B1401A 1802555C
	v_pk_mul_f32 v[28:29], v[92:93], v[44:45]                  // 0000000035A0: D3B1401C 1802595C
	v_pk_mul_f32 v[30:31], v[92:93], v[46:47]                  // 0000000035A8: D3B1401E 18025D5C
	v_cvt_pk_fp8_f32 v16, v16, v17                             // 0000000035B0: D2A20010 00022310
	v_cvt_pk_fp8_f32 v16, v18, v19 op_sel:[0,0,1]              // 0000000035B8: D2A24010 00022712
	v_cvt_pk_fp8_f32 v17, v20, v21                             // 0000000035C0: D2A20011 00022B14
	v_cvt_pk_fp8_f32 v17, v22, v23 op_sel:[0,0,1]              // 0000000035C8: D2A24011 00022F16
	v_cvt_pk_fp8_f32 v18, v24, v25                             // 0000000035D0: D2A20012 00023318
	v_cvt_pk_fp8_f32 v18, v26, v27 op_sel:[0,0,1]              // 0000000035D8: D2A24012 0002371A
	v_cvt_pk_fp8_f32 v19, v28, v29                             // 0000000035E0: D2A20013 00023B1C
	v_cvt_pk_fp8_f32 v19, v30, v31 op_sel:[0,0,1]              // 0000000035E8: D2A24013 00023F1E
	ds_write_b32 v130, v16 offset:2560                         // 0000000035F0: D81A0A00 00001082
	ds_write_b32 v130, v17 offset:3584                         // 0000000035F8: D81A0E00 00001182
	ds_write_b32 v130, v18 offset:4608                         // 000000003600: D81A1200 00001282
	ds_write_b32 v130, v19 offset:5632                         // 000000003608: D81A1600 00001382
	v_rcp_f32_e32 v70, v92                                     // 000000003610: 7E8C455C
	s_nop 0                                                    // 000000003614: BF800000
	v_mov_b32_e32 v71, v70                                     // 000000003618: 7E8E0346
	buffer_load_dwordx4 a[104:107], v114, s[16:19], 0 offen    // 00000000361C: E05C1000 80846872
	v_pk_add_f32 v[56:57], v[56:57], v[48:49]                  // 000000003624: D3B24038 18026138
	v_pk_add_f32 v[58:59], v[58:59], v[50:51]                  // 00000000362C: D3B2403A 1802653A
	v_pk_add_f32 v[60:61], v[60:61], v[52:53]                  // 000000003634: D3B2403C 1802693C
	v_pk_add_f32 v[62:63], v[62:63], v[54:55]                  // 00000000363C: D3B2403E 18026D3E
	s_waitcnt lgkmcnt(0)                                       // 000000003644: BF8CC07F
	s_barrier                                                  // 000000003648: BF8A0000
	ds_read_b128 v[16:19], v131 offset:2560                    // 00000000364C: D9FE0A00 10000083
	ds_read_b128 v[20:23], v131 offset:3584                    // 000000003654: D9FE0E00 14000083
	ds_read_b128 v[24:27], v131 offset:4608                    // 00000000365C: D9FE1200 18000083
	ds_read_b128 v[28:31], v131 offset:5632                    // 000000003664: D9FE1600 1C000083
	buffer_load_dwordx4 a[108:111], v115, s[16:19], 0 offen    // 00000000366C: E05C1000 80846C73
	s_waitcnt vmcnt(14)                                        // 000000003674: BF8C0F7E
	s_waitcnt lgkmcnt(3)                                       // 000000003678: BF8CC37F
	v_mfma_f32_16x16x32_fp8_fp8 v[48:51], a[64:65], v[16:17], 0// 00000000367C: D3F30030 0A022140
	s_lshl_b32 s68, s76, 2                                     // 000000003684: 8E44824C
	v_mfma_f32_16x16x32_fp8_fp8 v[52:55], a[80:81], v[16:17], 0// 000000003688: D3F30034 0A022150
	s_cmp_lt_u32 s76, s77                                      // 000000003690: BF0A4D4C
	s_cselect_b32 s68, s68, 0                                  // 000000003694: 85448044
	v_mfma_f32_16x16x32_fp8_fp8 v[48:51], a[66:67], v[18:19], v[48:51]// 000000003698: D3F30030 0CC22542
	buffer_load_dwordx4 a[112:115], v112, s[16:19], 0 offen offset:1024// 0000000036A0: E05C1400 80847070
	v_mfma_f32_16x16x32_fp8_fp8 v[52:55], a[82:83], v[18:19], v[52:55]// 0000000036A8: D3F30034 0CD22552
	s_addk_i32 s76, 0x1                                        // 0000000036B0: B74C0001
	s_waitcnt lgkmcnt(2)                                       // 0000000036B4: BF8CC27F
	v_mfma_f32_16x16x32_fp8_fp8 v[48:51], a[68:69], v[20:21], v[48:51]// 0000000036B8: D3F30030 0CC22944
	v_mfma_f32_16x16x32_fp8_fp8 v[52:55], a[84:85], v[20:21], v[52:55]// 0000000036C0: D3F30034 0CD22954
	v_mfma_f32_16x16x32_fp8_fp8 v[48:51], a[70:71], v[22:23], v[48:51]// 0000000036C8: D3F30030 0CC22D46
	buffer_load_dwordx4 a[116:119], v113, s[16:19], 0 offen offset:1024// 0000000036D0: E05C1400 80847471
	v_mfma_f32_16x16x32_fp8_fp8 v[52:55], a[86:87], v[22:23], v[52:55]// 0000000036D8: D3F30034 0CD22D56
	s_waitcnt lgkmcnt(1)                                       // 0000000036E0: BF8CC17F
	v_mfma_f32_16x16x32_fp8_fp8 v[48:51], a[72:73], v[24:25], v[48:51]// 0000000036E4: D3F30030 0CC23148
	v_mfma_f32_16x16x32_fp8_fp8 v[52:55], a[88:89], v[24:25], v[52:55]// 0000000036EC: D3F30034 0CD23158
	v_mfma_f32_16x16x32_fp8_fp8 v[48:51], a[74:75], v[26:27], v[48:51]// 0000000036F4: D3F30030 0CC2354A
	buffer_load_dwordx4 a[120:123], v114, s[16:19], 0 offen offset:1024// 0000000036FC: E05C1400 80847872
	v_mfma_f32_16x16x32_fp8_fp8 v[52:55], a[90:91], v[26:27], v[52:55]// 000000003704: D3F30034 0CD2355A
	s_waitcnt lgkmcnt(0)                                       // 00000000370C: BF8CC07F
	v_mfma_f32_16x16x32_fp8_fp8 v[48:51], a[76:77], v[28:29], v[48:51]// 000000003710: D3F30030 0CC2394C
	v_mfma_f32_16x16x32_fp8_fp8 v[52:55], a[92:93], v[28:29], v[52:55]// 000000003718: D3F30034 0CD2395C
	v_mfma_f32_16x16x32_fp8_fp8 v[48:51], a[78:79], v[30:31], v[48:51]// 000000003720: D3F30030 0CC23D4E
	buffer_load_dwordx4 a[124:127], v115, s[16:19], 0 offen offset:1024// 000000003728: E05C1400 80847C73
	v_mfma_f32_16x16x32_fp8_fp8 v[52:55], a[94:95], v[30:31], v[52:55]// 000000003730: D3F30034 0CD23D5E
	s_load_dword s59, s[42:43], s68                            // 000000003738: C0000ED5 00000044
	s_addk_i32 s64, 0x100                                      // 000000003740: B7400100
	s_cmp_lt_i32 s64, s63                                      // 000000003744: BF043F40
	s_cbranch_scc0 label_13CE                                  // 000000003748: BF840F7B
	s_waitcnt vmcnt(10)                                        // 00000000374C: BF8C0F7A
	v_mfma_f32_16x16x32_fp8_fp8 v[16:19], a[32:33], v[8:9], 0  // 000000003750: D3F30010 0A021120
	s_add_u32 s12, s86, s69                                    // 000000003758: 800C4556
	s_addc_u32 s13, s87, 0                                     // 00000000375C: 820D8057
	v_mfma_f32_16x16x32_fp8_fp8 v[16:19], a[34:35], v[10:11], v[16:19]// 000000003760: D3F30010 0C421522
	s_add_u32 s16, s88, s70                                    // 000000003768: 80104658
	s_addc_u32 s17, s89, 0                                     // 00000000376C: 82118059
	v_mfma_f32_16x16x32_fp8_fp8 v[16:19], a[36:37], v[12:13], v[16:19]// 000000003770: D3F30010 0C421924
	buffer_load_dwordx4 a[0:3], v110, s[12:15], 0 offen        // 000000003778: E05C1000 8083006E
	v_mfma_f32_16x16x32_fp8_fp8 v[16:19], a[38:39], v[14:15], v[16:19]// 000000003780: D3F30010 0C421D26
	s_add_u32 s20, s90, s71                                    // 000000003788: 8014475A
	s_addc_u32 s21, s91, 0                                     // 00000000378C: 8215805B
	v_mfma_f32_16x16x32_fp8_fp8 v[20:23], a[40:41], v[8:9], 0  // 000000003790: D3F30014 0A021128
	s_add_u32 s24, s92, s71                                    // 000000003798: 8018475C
	s_addc_u32 s25, s93, 0                                     // 00000000379C: 8219805D
	v_mfma_f32_16x16x32_fp8_fp8 v[20:23], a[42:43], v[10:11], v[20:23]// 0000000037A0: D3F30014 0C52152A
	s_add_u32 s69, s69, 0x1000                                 // 0000000037A8: 8045FF45 00001000
	s_add_u32 s70, s70, 0x8000                                 // 0000000037B0: 8046FF46 00008000
	v_mfma_f32_16x16x32_fp8_fp8 v[20:23], a[44:45], v[12:13], v[20:23]// 0000000037B8: D3F30014 0C52192C
	buffer_load_dwordx4 a[4:7], v111, s[12:15], 0 offen        // 0000000037C0: E05C1000 8083046F
	v_mfma_f32_16x16x32_fp8_fp8 v[20:23], a[46:47], v[14:15], v[20:23]// 0000000037C8: D3F30014 0C521D2E
	v_mfma_f32_16x16x32_fp8_fp8 v[24:27], a[48:49], v[8:9], 0  // 0000000037D0: D3F30018 0A021130
	v_mfma_f32_16x16x32_fp8_fp8 v[24:27], a[50:51], v[10:11], v[24:27]// 0000000037D8: D3F30018 0C621532
	v_mfma_f32_16x16x32_fp8_fp8 v[24:27], a[52:53], v[12:13], v[24:27]// 0000000037E0: D3F30018 0C621934
	buffer_load_dwordx4 a[8:11], v110, s[12:15], 0 offen offset:1024// 0000000037E8: E05C1400 8083086E
	v_mfma_f32_16x16x32_fp8_fp8 v[24:27], a[54:55], v[14:15], v[24:27]// 0000000037F0: D3F30018 0C621D36
	v_mfma_f32_16x16x32_fp8_fp8 v[28:31], a[56:57], v[8:9], 0  // 0000000037F8: D3F3001C 0A021138
	v_mfma_f32_16x16x32_fp8_fp8 v[28:31], a[58:59], v[10:11], v[28:31]// 000000003800: D3F3001C 0C72153A
	v_mfma_f32_16x16x32_fp8_fp8 v[28:31], a[60:61], v[12:13], v[28:31]// 000000003808: D3F3001C 0C72193C
	buffer_load_dwordx4 a[12:15], v111, s[12:15], 0 offen offset:1024// 000000003810: E05C1400 80830C6F
	v_mfma_f32_16x16x32_fp8_fp8 v[28:31], a[62:63], v[14:15], v[28:31]// 000000003818: D3F3001C 0C721D3E
	s_waitcnt vmcnt(12)                                        // 000000003820: BF8C0F7C
	v_pk_mul_f32 v[16:17], v[64:65], v[16:17]                  // 000000003824: D3B14010 18022140
	v_pk_mul_f32 v[18:19], v[64:65], v[18:19]                  // 00000000382C: D3B14012 18022540
	v_mul_f32_dpp v16, v67, v16 row_newbcast:0 row_mask:0xf bank_mask:0xf// 000000003834: 0A2020FA FF015043
	v_mul_f32_dpp v17, v67, v17 row_newbcast:1 row_mask:0xf bank_mask:0xf// 00000000383C: 0A2222FA FF015143
	v_mul_f32_dpp v18, v67, v18 row_newbcast:2 row_mask:0xf bank_mask:0xf// 000000003844: 0A2424FA FF015243
	v_mul_f32_dpp v19, v67, v19 row_newbcast:3 row_mask:0xf bank_mask:0xf// 00000000384C: 0A2626FA FF015343
	v_pk_mul_f32 v[20:21], v[64:65], v[20:21]                  // 000000003854: D3B14014 18022940
	v_pk_mul_f32 v[22:23], v[64:65], v[22:23]                  // 00000000385C: D3B14016 18022D40
	v_mul_f32_dpp v20, v67, v20 row_newbcast:4 row_mask:0xf bank_mask:0xf// 000000003864: 0A2828FA FF015443
	v_mul_f32_dpp v21, v67, v21 row_newbcast:5 row_mask:0xf bank_mask:0xf// 00000000386C: 0A2A2AFA FF015543
	v_mul_f32_dpp v22, v67, v22 row_newbcast:6 row_mask:0xf bank_mask:0xf// 000000003874: 0A2C2CFA FF015643
	v_mul_f32_dpp v23, v67, v23 row_newbcast:7 row_mask:0xf bank_mask:0xf// 00000000387C: 0A2E2EFA FF015743
	v_pk_mul_f32 v[24:25], v[64:65], v[24:25]                  // 000000003884: D3B14018 18023140
	v_pk_mul_f32 v[26:27], v[64:65], v[26:27]                  // 00000000388C: D3B1401A 18023540
	v_mul_f32_dpp v24, v67, v24 row_newbcast:8 row_mask:0xf bank_mask:0xf// 000000003894: 0A3030FA FF015843
	v_mul_f32_dpp v25, v67, v25 row_newbcast:9 row_mask:0xf bank_mask:0xf// 00000000389C: 0A3232FA FF015943
	v_mul_f32_dpp v26, v67, v26 row_newbcast:10 row_mask:0xf bank_mask:0xf// 0000000038A4: 0A3434FA FF015A43
	v_mul_f32_dpp v27, v67, v27 row_newbcast:11 row_mask:0xf bank_mask:0xf// 0000000038AC: 0A3636FA FF015B43
	v_pk_mul_f32 v[28:29], v[64:65], v[28:29]                  // 0000000038B4: D3B1401C 18023940
	v_pk_mul_f32 v[30:31], v[64:65], v[30:31]                  // 0000000038BC: D3B1401E 18023D40
	v_mul_f32_dpp v28, v67, v28 row_newbcast:12 row_mask:0xf bank_mask:0xf// 0000000038C4: 0A3838FA FF015C43
	v_mul_f32_dpp v29, v67, v29 row_newbcast:13 row_mask:0xf bank_mask:0xf// 0000000038CC: 0A3A3AFA FF015D43
	v_mul_f32_dpp v30, v67, v30 row_newbcast:14 row_mask:0xf bank_mask:0xf// 0000000038D4: 0A3C3CFA FF015E43
	v_mul_f32_dpp v31, v67, v31 row_newbcast:15 row_mask:0xf bank_mask:0xf// 0000000038DC: 0A3E3EFA FF015F43
	buffer_load_dwordx4 a[16:19], v110, s[12:15], 0 offen offset:2048// 0000000038E4: E05C1800 8083106E
	v_mov_b32_e32 v92, v16                                     // 0000000038EC: 7EB80310
	v_max3_f32 v92, v16, v17, v92                              // 0000000038F0: D1D3005C 05722310
	v_max3_f32 v92, v18, v19, v92                              // 0000000038F8: D1D3005C 05722712
	v_max3_f32 v92, v20, v21, v92                              // 000000003900: D1D3005C 05722B14
	v_max3_f32 v92, v22, v23, v92                              // 000000003908: D1D3005C 05722F16
	v_max3_f32 v92, v24, v25, v92                              // 000000003910: D1D3005C 05723318
	v_max3_f32 v92, v26, v27, v92                              // 000000003918: D1D3005C 0572371A
	v_max3_f32 v92, v28, v29, v92                              // 000000003920: D1D3005C 05723B1C
	v_max3_f32 v92, v30, v31, v92                              // 000000003928: D1D3005C 05723F1E
	ds_write_b32 v128, v92                                     // 000000003930: D81A0000 00005C80
	v_pk_mul_f32 v[56:57], v[94:95], v[56:57]                  // 000000003938: D3B14038 1802715E
	v_pk_mul_f32 v[58:59], v[94:95], v[58:59]                  // 000000003940: D3B1403A 1802755E
	v_pk_mul_f32 v[60:61], v[94:95], v[60:61]                  // 000000003948: D3B1403C 1802795E
	v_pk_mul_f32 v[62:63], v[94:95], v[62:63]                  // 000000003950: D3B1403E 18027D5E
	buffer_load_dwordx4 a[20:23], v111, s[12:15], 0 offen offset:2048// 000000003958: E05C1800 8083146F
	s_waitcnt lgkmcnt(0)                                       // 000000003960: BF8CC07F
	s_barrier                                                  // 000000003964: BF8A0000
	ds_read_b32 v76, v129                                      // 000000003968: D86C0000 4C000081
	ds_read_b32 v77, v129 offset:64                            // 000000003970: D86C0040 4D000081
	ds_read_b32 v78, v129 offset:128                           // 000000003978: D86C0080 4E000081
	ds_read_b32 v79, v129 offset:192                           // 000000003980: D86C00C0 4F000081
	ds_read_b32 v80, v129 offset:256                           // 000000003988: D86C0100 50000081
	ds_read_b32 v81, v129 offset:320                           // 000000003990: D86C0140 51000081
	ds_read_b32 v82, v129 offset:384                           // 000000003998: D86C0180 52000081
	ds_read_b32 v83, v129 offset:448                           // 0000000039A0: D86C01C0 53000081
	ds_read_b32 v84, v129 offset:512                           // 0000000039A8: D86C0200 54000081
	ds_read_b32 v85, v129 offset:576                           // 0000000039B0: D86C0240 55000081
	ds_read_b32 v86, v129 offset:640                           // 0000000039B8: D86C0280 56000081
	ds_read_b32 v87, v129 offset:704                           // 0000000039C0: D86C02C0 57000081
	ds_read_b32 v88, v129 offset:768                           // 0000000039C8: D86C0300 58000081
	ds_read_b32 v89, v129 offset:832                           // 0000000039D0: D86C0340 59000081
	ds_read_b32 v90, v129 offset:896                           // 0000000039D8: D86C0380 5A000081
	ds_read_b32 v91, v129 offset:960                           // 0000000039E0: D86C03C0 5B000081
	buffer_load_dwordx4 a[28:31], v111, s[12:15], 0 offen offset:3072// 0000000039E8: E05C1C00 80831C6F
	v_pk_mul_f32 v[48:49], v[70:71], v[48:49]                  // 0000000039F0: D3B14030 18026146
	v_pk_mul_f32 v[50:51], v[70:71], v[50:51]                  // 0000000039F8: D3B14032 18026546
	v_pk_mul_f32 v[52:53], v[70:71], v[52:53]                  // 000000003A00: D3B14034 18026946
	v_pk_mul_f32 v[54:55], v[70:71], v[54:55]                  // 000000003A08: D3B14036 18026D46
	buffer_load_dwordx4 a[24:27], v110, s[12:15], 0 offen offset:3072// 000000003A10: E05C1C00 8083186E
	s_waitcnt lgkmcnt(0)                                       // 000000003A18: BF8CC07F
	v_max3_f32 v92, v76, v77, v92                              // 000000003A1C: D1D3005C 05729B4C
	v_max3_f32 v92, v78, v79, v92                              // 000000003A24: D1D3005C 05729F4E
	v_max3_f32 v92, v80, v81, v92                              // 000000003A2C: D1D3005C 0572A350
	v_max3_f32 v92, v82, v83, v92                              // 000000003A34: D1D3005C 0572A752
	v_max3_f32 v92, v84, v85, v92                              // 000000003A3C: D1D3005C 0572AB54
	v_max3_f32 v92, v86, v87, v92                              // 000000003A44: D1D3005C 0572AF56
	v_max3_f32 v92, v88, v89, v92                              // 000000003A4C: D1D3005C 0572B358
	v_max3_f32 v92, v90, v91, v92                              // 000000003A54: D1D3005C 0572B75A
	v_max_f32_e32 v97, v92, v96                                // 000000003A5C: 16C2C15C
	v_mul_f32_e64 v72, -s46, v97                               // 000000003A60: D1050048 2002C22E
	v_mov_b32_e32 v73, v72                                     // 000000003A68: 7E920348
	v_pk_fma_f32 v[16:17], v[16:17], s[46:47], v[72:73]        // 000000003A6C: D3B04010 1D205D10
	v_pk_fma_f32 v[18:19], v[18:19], s[46:47], v[72:73]        // 000000003A74: D3B04012 1D205D12
	v_exp_f32_e32 v16, v16                                     // 000000003A7C: 7E204110
	v_exp_f32_e32 v17, v17                                     // 000000003A80: 7E224111
	v_exp_f32_e32 v18, v18                                     // 000000003A84: 7E244112
	v_exp_f32_e32 v19, v19                                     // 000000003A88: 7E264113
	v_pk_fma_f32 v[20:21], v[20:21], s[46:47], v[72:73]        // 000000003A8C: D3B04014 1D205D14
	v_pk_fma_f32 v[22:23], v[22:23], s[46:47], v[72:73]        // 000000003A94: D3B04016 1D205D16
	v_exp_f32_e32 v20, v20                                     // 000000003A9C: 7E284114
	v_exp_f32_e32 v21, v21                                     // 000000003AA0: 7E2A4115
	v_exp_f32_e32 v22, v22                                     // 000000003AA4: 7E2C4116
	v_exp_f32_e32 v23, v23                                     // 000000003AA8: 7E2E4117
	v_pk_fma_f32 v[24:25], v[24:25], s[46:47], v[72:73]        // 000000003AAC: D3B04018 1D205D18
	v_pk_fma_f32 v[26:27], v[26:27], s[46:47], v[72:73]        // 000000003AB4: D3B0401A 1D205D1A
	v_exp_f32_e32 v24, v24                                     // 000000003ABC: 7E304118
	v_exp_f32_e32 v25, v25                                     // 000000003AC0: 7E324119
	v_exp_f32_e32 v26, v26                                     // 000000003AC4: 7E34411A
	v_exp_f32_e32 v27, v27                                     // 000000003AC8: 7E36411B
	v_pk_fma_f32 v[28:29], v[28:29], s[46:47], v[72:73]        // 000000003ACC: D3B0401C 1D205D1C
	v_pk_fma_f32 v[30:31], v[30:31], s[46:47], v[72:73]        // 000000003AD4: D3B0401E 1D205D1E
	v_exp_f32_e32 v28, v28                                     // 000000003ADC: 7E38411C
	v_exp_f32_e32 v29, v29                                     // 000000003AE0: 7E3A411D
	v_exp_f32_e32 v30, v30                                     // 000000003AE4: 7E3C411E
	v_exp_f32_e32 v31, v31                                     // 000000003AE8: 7E3E411F
	v_mul_f32_dpp v32, v69, v16 row_newbcast:0 row_mask:0xf bank_mask:0xf// 000000003AEC: 0A4020FA FF015045
	v_mul_f32_dpp v33, v69, v17 row_newbcast:1 row_mask:0xf bank_mask:0xf// 000000003AF4: 0A4222FA FF015145
	v_mul_f32_dpp v34, v69, v18 row_newbcast:2 row_mask:0xf bank_mask:0xf// 000000003AFC: 0A4424FA FF015245
	v_mul_f32_dpp v35, v69, v19 row_newbcast:3 row_mask:0xf bank_mask:0xf// 000000003B04: 0A4626FA FF015345
	v_mul_f32_dpp v36, v69, v20 row_newbcast:4 row_mask:0xf bank_mask:0xf// 000000003B0C: 0A4828FA FF015445
	v_mul_f32_dpp v37, v69, v21 row_newbcast:5 row_mask:0xf bank_mask:0xf// 000000003B14: 0A4A2AFA FF015545
	v_mul_f32_dpp v38, v69, v22 row_newbcast:6 row_mask:0xf bank_mask:0xf// 000000003B1C: 0A4C2CFA FF015645
	v_mul_f32_dpp v39, v69, v23 row_newbcast:7 row_mask:0xf bank_mask:0xf// 000000003B24: 0A4E2EFA FF015745
	v_mul_f32_dpp v40, v69, v24 row_newbcast:8 row_mask:0xf bank_mask:0xf// 000000003B2C: 0A5030FA FF015845
	v_mul_f32_dpp v41, v69, v25 row_newbcast:9 row_mask:0xf bank_mask:0xf// 000000003B34: 0A5232FA FF015945
	v_mul_f32_dpp v42, v69, v26 row_newbcast:10 row_mask:0xf bank_mask:0xf// 000000003B3C: 0A5434FA FF015A45
	v_mul_f32_dpp v43, v69, v27 row_newbcast:11 row_mask:0xf bank_mask:0xf// 000000003B44: 0A5636FA FF015B45
	v_mul_f32_dpp v44, v69, v28 row_newbcast:12 row_mask:0xf bank_mask:0xf// 000000003B4C: 0A5838FA FF015C45
	v_mul_f32_dpp v45, v69, v29 row_newbcast:13 row_mask:0xf bank_mask:0xf// 000000003B54: 0A5A3AFA FF015D45
	v_mul_f32_dpp v46, v69, v30 row_newbcast:14 row_mask:0xf bank_mask:0xf// 000000003B5C: 0A5C3CFA FF015E45
	v_mul_f32_dpp v47, v69, v31 row_newbcast:15 row_mask:0xf bank_mask:0xf// 000000003B64: 0A5E3EFA FF015F45
	buffer_load_dword v66, v116, s[20:23], 0 offen             // 000000003B6C: E0501000 80054274
	v_sub_f32_e32 v94, v96, v97                                // 000000003B74: 04BCC360
	v_cmp_eq_u32_e64 s[98:99], v107, v96                       // 000000003B78: D0CA0062 0002C16B
	s_nop 0                                                    // 000000003B80: BF800000
	v_cndmask_b32_e64 v94, v94, 0, s[98:99]                    // 000000003B84: D100005E 0189015E
	v_mov_b32_e32 v96, v97                                     // 000000003B8C: 7EC00361
	v_mul_f32_e32 v94, s46, v94                                // 000000003B90: 0ABCBC2E
	v_exp_f32_e32 v94, v94                                     // 000000003B94: 7EBC415E
	s_nop 0                                                    // 000000003B98: BF800000
	v_mov_b32_e32 v95, v94                                     // 000000003B9C: 7EBE035E
	buffer_load_dword v68, v117, s[24:27], 0 offen             // 000000003BA0: E0501000 80064475
	s_waitcnt lgkmcnt(0)                                       // 000000003BA8: BF8CC07F
	s_barrier                                                  // 000000003BAC: BF8A0000
	buffer_load_dwordx4 a[64:67], v112, s[16:19], 0 offen      // 000000003BB0: E05C1000 80844070
	v_mul_f32_e32 v98, v94, v98                                // 000000003BB8: 0AC4C55E
	v_add_f32_e32 v98, v16, v98                                // 000000003BBC: 02C4C510
	v_add_f32_e32 v98, v17, v98                                // 000000003BC0: 02C4C511
	v_add_f32_e32 v98, v18, v98                                // 000000003BC4: 02C4C512
	v_add_f32_e32 v98, v19, v98                                // 000000003BC8: 02C4C513
	v_add_f32_e32 v98, v20, v98                                // 000000003BCC: 02C4C514
	v_add_f32_e32 v98, v21, v98                                // 000000003BD0: 02C4C515
	v_add_f32_e32 v98, v22, v98                                // 000000003BD4: 02C4C516
	v_add_f32_e32 v98, v23, v98                                // 000000003BD8: 02C4C517
	v_add_f32_e32 v98, v24, v98                                // 000000003BDC: 02C4C518
	v_add_f32_e32 v98, v25, v98                                // 000000003BE0: 02C4C519
	v_add_f32_e32 v98, v26, v98                                // 000000003BE4: 02C4C51A
	v_add_f32_e32 v98, v27, v98                                // 000000003BE8: 02C4C51B
	v_add_f32_e32 v98, v28, v98                                // 000000003BEC: 02C4C51C
	v_add_f32_e32 v98, v29, v98                                // 000000003BF0: 02C4C51D
	v_add_f32_e32 v98, v30, v98                                // 000000003BF4: 02C4C51E
	v_add_f32_e32 v98, v31, v98                                // 000000003BF8: 02C4C51F
	buffer_load_dwordx4 a[68:71], v113, s[16:19], 0 offen      // 000000003BFC: E05C1000 80844471
	s_waitcnt lgkmcnt(0)                                       // 000000003C04: BF8CC07F
	v_sub_f32_e32 v92, v92, v96                                // 000000003C08: 04B8C15C
	v_mul_f32_e32 v92, s46, v92                                // 000000003C0C: 0AB8B82E
	v_exp_f32_e32 v92, v92                                     // 000000003C10: 7EB8415C
	s_nop 0                                                    // 000000003C14: BF800000
	v_mul_f32_e32 v92, v69, v92                                // 000000003C18: 0AB8B945
	v_add_f32_e32 v92, 0x3089705f, v92                         // 000000003C1C: 02B8B8FF 3089705F
	v_rcp_f32_e32 v92, v92                                     // 000000003C24: 7EB8455C
	s_nop 0                                                    // 000000003C28: BF800000
	v_mul_f32_e32 v92, 0x43700000, v92                         // 000000003C2C: 0AB8B8FF 43700000
	v_mov_b32_e32 v93, v92                                     // 000000003C34: 7EBA035C
	v_pk_mul_f32 v[16:17], v[92:93], v[32:33]                  // 000000003C38: D3B14010 1802415C
	v_pk_mul_f32 v[18:19], v[92:93], v[34:35]                  // 000000003C40: D3B14012 1802455C
	v_pk_mul_f32 v[20:21], v[92:93], v[36:37]                  // 000000003C48: D3B14014 1802495C
	v_pk_mul_f32 v[22:23], v[92:93], v[38:39]                  // 000000003C50: D3B14016 18024D5C
	v_pk_mul_f32 v[24:25], v[92:93], v[40:41]                  // 000000003C58: D3B14018 1802515C
	v_pk_mul_f32 v[26:27], v[92:93], v[42:43]                  // 000000003C60: D3B1401A 1802555C
	v_pk_mul_f32 v[28:29], v[92:93], v[44:45]                  // 000000003C68: D3B1401C 1802595C
	v_pk_mul_f32 v[30:31], v[92:93], v[46:47]                  // 000000003C70: D3B1401E 18025D5C
	v_cvt_pk_fp8_f32 v16, v16, v17                             // 000000003C78: D2A20010 00022310
	v_cvt_pk_fp8_f32 v16, v18, v19 op_sel:[0,0,1]              // 000000003C80: D2A24010 00022712
	v_cvt_pk_fp8_f32 v17, v20, v21                             // 000000003C88: D2A20011 00022B14
	v_cvt_pk_fp8_f32 v17, v22, v23 op_sel:[0,0,1]              // 000000003C90: D2A24011 00022F16
	v_cvt_pk_fp8_f32 v18, v24, v25                             // 000000003C98: D2A20012 00023318
	v_cvt_pk_fp8_f32 v18, v26, v27 op_sel:[0,0,1]              // 000000003CA0: D2A24012 0002371A
	v_cvt_pk_fp8_f32 v19, v28, v29                             // 000000003CA8: D2A20013 00023B1C
	v_cvt_pk_fp8_f32 v19, v30, v31 op_sel:[0,0,1]              // 000000003CB0: D2A24013 00023F1E
	ds_write_b32 v130, v16 offset:2560                         // 000000003CB8: D81A0A00 00001082
	ds_write_b32 v130, v17 offset:3584                         // 000000003CC0: D81A0E00 00001182
	ds_write_b32 v130, v18 offset:4608                         // 000000003CC8: D81A1200 00001282
	ds_write_b32 v130, v19 offset:5632                         // 000000003CD0: D81A1600 00001382
	v_rcp_f32_e32 v70, v92                                     // 000000003CD8: 7E8C455C
	s_nop 0                                                    // 000000003CDC: BF800000
	v_mov_b32_e32 v71, v70                                     // 000000003CE0: 7E8E0346
	buffer_load_dwordx4 a[72:75], v114, s[16:19], 0 offen      // 000000003CE4: E05C1000 80844872
	v_pk_add_f32 v[56:57], v[56:57], v[48:49]                  // 000000003CEC: D3B24038 18026138
	v_pk_add_f32 v[58:59], v[58:59], v[50:51]                  // 000000003CF4: D3B2403A 1802653A
	v_pk_add_f32 v[60:61], v[60:61], v[52:53]                  // 000000003CFC: D3B2403C 1802693C
	v_pk_add_f32 v[62:63], v[62:63], v[54:55]                  // 000000003D04: D3B2403E 18026D3E
	s_waitcnt lgkmcnt(0)                                       // 000000003D0C: BF8CC07F
	s_barrier                                                  // 000000003D10: BF8A0000
	ds_read_b128 v[16:19], v131 offset:2560                    // 000000003D14: D9FE0A00 10000083
	ds_read_b128 v[20:23], v131 offset:3584                    // 000000003D1C: D9FE0E00 14000083
	ds_read_b128 v[24:27], v131 offset:4608                    // 000000003D24: D9FE1200 18000083
	ds_read_b128 v[28:31], v131 offset:5632                    // 000000003D2C: D9FE1600 1C000083
	buffer_load_dwordx4 a[76:79], v115, s[16:19], 0 offen      // 000000003D34: E05C1000 80844C73
	s_waitcnt vmcnt(14)                                        // 000000003D3C: BF8C0F7E
	s_waitcnt lgkmcnt(3)                                       // 000000003D40: BF8CC37F
	v_mfma_f32_16x16x32_fp8_fp8 v[48:51], a[96:97], v[16:17], 0// 000000003D44: D3F30030 0A022160
	v_mfma_f32_16x16x32_fp8_fp8 v[52:55], a[112:113], v[16:17], 0// 000000003D4C: D3F30034 0A022170
	v_mfma_f32_16x16x32_fp8_fp8 v[48:51], a[98:99], v[18:19], v[48:51]// 000000003D54: D3F30030 0CC22562
	buffer_load_dwordx4 a[80:83], v112, s[16:19], 0 offen offset:1024// 000000003D5C: E05C1400 80845070
	v_mfma_f32_16x16x32_fp8_fp8 v[52:55], a[114:115], v[18:19], v[52:55]// 000000003D64: D3F30034 0CD22572
	s_waitcnt lgkmcnt(2)                                       // 000000003D6C: BF8CC27F
	v_mfma_f32_16x16x32_fp8_fp8 v[48:51], a[100:101], v[20:21], v[48:51]// 000000003D70: D3F30030 0CC22964
	v_mfma_f32_16x16x32_fp8_fp8 v[52:55], a[116:117], v[20:21], v[52:55]// 000000003D78: D3F30034 0CD22974
	v_mfma_f32_16x16x32_fp8_fp8 v[48:51], a[102:103], v[22:23], v[48:51]// 000000003D80: D3F30030 0CC22D66
	buffer_load_dwordx4 a[84:87], v113, s[16:19], 0 offen offset:1024// 000000003D88: E05C1400 80845471
	v_mfma_f32_16x16x32_fp8_fp8 v[52:55], a[118:119], v[22:23], v[52:55]// 000000003D90: D3F30034 0CD22D76
	s_waitcnt lgkmcnt(1)                                       // 000000003D98: BF8CC17F
	v_mfma_f32_16x16x32_fp8_fp8 v[48:51], a[104:105], v[24:25], v[48:51]// 000000003D9C: D3F30030 0CC23168
	v_mfma_f32_16x16x32_fp8_fp8 v[52:55], a[120:121], v[24:25], v[52:55]// 000000003DA4: D3F30034 0CD23178
	v_mfma_f32_16x16x32_fp8_fp8 v[48:51], a[106:107], v[26:27], v[48:51]// 000000003DAC: D3F30030 0CC2356A
	buffer_load_dwordx4 a[88:91], v114, s[16:19], 0 offen offset:1024// 000000003DB4: E05C1400 80845872
	v_mfma_f32_16x16x32_fp8_fp8 v[52:55], a[122:123], v[26:27], v[52:55]// 000000003DBC: D3F30034 0CD2357A
	s_waitcnt lgkmcnt(0)                                       // 000000003DC4: BF8CC07F
	v_mfma_f32_16x16x32_fp8_fp8 v[48:51], a[108:109], v[28:29], v[48:51]// 000000003DC8: D3F30030 0CC2396C
	v_mfma_f32_16x16x32_fp8_fp8 v[52:55], a[124:125], v[28:29], v[52:55]// 000000003DD0: D3F30034 0CD2397C
	v_mfma_f32_16x16x32_fp8_fp8 v[48:51], a[110:111], v[30:31], v[48:51]// 000000003DD8: D3F30030 0CC23D6E
	buffer_load_dwordx4 a[92:95], v115, s[16:19], 0 offen offset:1024// 000000003DE0: E05C1400 80845C73
	v_mfma_f32_16x16x32_fp8_fp8 v[52:55], a[126:127], v[30:31], v[52:55]// 000000003DE8: D3F30034 0CD23D7E
	s_addk_i32 s64, 0x100                                      // 000000003DF0: B7400100
	s_cmp_lt_i32 s64, s63                                      // 000000003DF4: BF043F40
	s_cbranch_scc0 label_1783                                  // 000000003DF8: BF841184
	s_waitcnt vmcnt(10)                                        // 000000003DFC: BF8C0F7A
	v_mfma_f32_16x16x32_fp8_fp8 v[16:19], a[0:1], v[8:9], 0    // 000000003E00: D3F30010 0A021100
	s_add_u32 s12, s86, s69                                    // 000000003E08: 800C4556
	s_addc_u32 s13, s87, 0                                     // 000000003E0C: 820D8057
	v_mfma_f32_16x16x32_fp8_fp8 v[16:19], a[2:3], v[10:11], v[16:19]// 000000003E10: D3F30010 0C421502
	s_add_u32 s16, s88, s70                                    // 000000003E18: 80104658
	s_addc_u32 s17, s89, 0                                     // 000000003E1C: 82118059
	v_mfma_f32_16x16x32_fp8_fp8 v[16:19], a[4:5], v[12:13], v[16:19]// 000000003E20: D3F30010 0C421904
	buffer_load_dwordx4 a[32:35], v110, s[12:15], 0 offen      // 000000003E28: E05C1000 8083206E
	v_mfma_f32_16x16x32_fp8_fp8 v[16:19], a[6:7], v[14:15], v[16:19]// 000000003E30: D3F30010 0C421D06
	s_add_u32 s20, s90, s71                                    // 000000003E38: 8014475A
	s_addc_u32 s21, s91, 0                                     // 000000003E3C: 8215805B
	v_mfma_f32_16x16x32_fp8_fp8 v[20:23], a[8:9], v[8:9], 0    // 000000003E40: D3F30014 0A021108
	s_add_u32 s24, s92, s71                                    // 000000003E48: 8018475C
	s_addc_u32 s25, s93, 0                                     // 000000003E4C: 8219805D
	v_mfma_f32_16x16x32_fp8_fp8 v[20:23], a[10:11], v[10:11], v[20:23]// 000000003E50: D3F30014 0C52150A
	s_mul_i32 s69, s59, s50                                    // 000000003E58: 9245323B
	s_mul_i32 s71, s59, s66                                    // 000000003E5C: 9247423B
	v_mfma_f32_16x16x32_fp8_fp8 v[20:23], a[12:13], v[12:13], v[20:23]// 000000003E60: D3F30014 0C52190C
	buffer_load_dwordx4 a[36:39], v111, s[12:15], 0 offen      // 000000003E68: E05C1000 8083246F
	v_mfma_f32_16x16x32_fp8_fp8 v[20:23], a[14:15], v[14:15], v[20:23]// 000000003E70: D3F30014 0C521D0E
	s_mul_i32 s54, s78, s51                                    // 000000003E78: 9236334E
	s_add_u32 s69, s69, s54                                    // 000000003E7C: 80453645
	v_mfma_f32_16x16x32_fp8_fp8 v[24:27], a[16:17], v[8:9], 0  // 000000003E80: D3F30018 0A021110
	s_mov_b32 s70, s69                                         // 000000003E88: BEC60045
	v_mfma_f32_16x16x32_fp8_fp8 v[24:27], a[18:19], v[10:11], v[24:27]// 000000003E8C: D3F30018 0C621512
	s_mul_i32 s54, s78, 4                                      // 000000003E94: 9236844E
	s_add_u32 s71, s71, s54                                    // 000000003E98: 80473647
	v_mfma_f32_16x16x32_fp8_fp8 v[24:27], a[20:21], v[12:13], v[24:27]// 000000003E9C: D3F30018 0C621914
	buffer_load_dwordx4 a[40:43], v110, s[12:15], 0 offen offset:1024// 000000003EA4: E05C1400 8083286E
	v_mfma_f32_16x16x32_fp8_fp8 v[24:27], a[22:23], v[14:15], v[24:27]// 000000003EAC: D3F30018 0C621D16
	v_mfma_f32_16x16x32_fp8_fp8 v[28:31], a[24:25], v[8:9], 0  // 000000003EB4: D3F3001C 0A021118
	v_mfma_f32_16x16x32_fp8_fp8 v[28:31], a[26:27], v[10:11], v[28:31]// 000000003EBC: D3F3001C 0C72151A
	v_mfma_f32_16x16x32_fp8_fp8 v[28:31], a[28:29], v[12:13], v[28:31]// 000000003EC4: D3F3001C 0C72191C
	buffer_load_dwordx4 a[44:47], v111, s[12:15], 0 offen offset:1024// 000000003ECC: E05C1400 80832C6F
	v_mfma_f32_16x16x32_fp8_fp8 v[28:31], a[30:31], v[14:15], v[28:31]// 000000003ED4: D3F3001C 0C721D1E
	s_waitcnt vmcnt(12)                                        // 000000003EDC: BF8C0F7C
	v_pk_mul_f32 v[16:17], v[64:65], v[16:17]                  // 000000003EE0: D3B14010 18022140
	v_pk_mul_f32 v[18:19], v[64:65], v[18:19]                  // 000000003EE8: D3B14012 18022540
	v_mul_f32_dpp v16, v66, v16 row_newbcast:0 row_mask:0xf bank_mask:0xf// 000000003EF0: 0A2020FA FF015042
	v_mul_f32_dpp v17, v66, v17 row_newbcast:1 row_mask:0xf bank_mask:0xf// 000000003EF8: 0A2222FA FF015142
	v_mul_f32_dpp v18, v66, v18 row_newbcast:2 row_mask:0xf bank_mask:0xf// 000000003F00: 0A2424FA FF015242
	v_mul_f32_dpp v19, v66, v19 row_newbcast:3 row_mask:0xf bank_mask:0xf// 000000003F08: 0A2626FA FF015342
	v_pk_mul_f32 v[20:21], v[64:65], v[20:21]                  // 000000003F10: D3B14014 18022940
	v_pk_mul_f32 v[22:23], v[64:65], v[22:23]                  // 000000003F18: D3B14016 18022D40
	v_mul_f32_dpp v20, v66, v20 row_newbcast:4 row_mask:0xf bank_mask:0xf// 000000003F20: 0A2828FA FF015442
	v_mul_f32_dpp v21, v66, v21 row_newbcast:5 row_mask:0xf bank_mask:0xf// 000000003F28: 0A2A2AFA FF015542
	v_mul_f32_dpp v22, v66, v22 row_newbcast:6 row_mask:0xf bank_mask:0xf// 000000003F30: 0A2C2CFA FF015642
	v_mul_f32_dpp v23, v66, v23 row_newbcast:7 row_mask:0xf bank_mask:0xf// 000000003F38: 0A2E2EFA FF015742
	v_pk_mul_f32 v[24:25], v[64:65], v[24:25]                  // 000000003F40: D3B14018 18023140
	v_pk_mul_f32 v[26:27], v[64:65], v[26:27]                  // 000000003F48: D3B1401A 18023540
	v_mul_f32_dpp v24, v66, v24 row_newbcast:8 row_mask:0xf bank_mask:0xf// 000000003F50: 0A3030FA FF015842
	v_mul_f32_dpp v25, v66, v25 row_newbcast:9 row_mask:0xf bank_mask:0xf// 000000003F58: 0A3232FA FF015942
	v_mul_f32_dpp v26, v66, v26 row_newbcast:10 row_mask:0xf bank_mask:0xf// 000000003F60: 0A3434FA FF015A42
	v_mul_f32_dpp v27, v66, v27 row_newbcast:11 row_mask:0xf bank_mask:0xf// 000000003F68: 0A3636FA FF015B42
	v_pk_mul_f32 v[28:29], v[64:65], v[28:29]                  // 000000003F70: D3B1401C 18023940
	v_pk_mul_f32 v[30:31], v[64:65], v[30:31]                  // 000000003F78: D3B1401E 18023D40
	v_mul_f32_dpp v28, v66, v28 row_newbcast:12 row_mask:0xf bank_mask:0xf// 000000003F80: 0A3838FA FF015C42
	v_mul_f32_dpp v29, v66, v29 row_newbcast:13 row_mask:0xf bank_mask:0xf// 000000003F88: 0A3A3AFA FF015D42
	v_mul_f32_dpp v30, v66, v30 row_newbcast:14 row_mask:0xf bank_mask:0xf// 000000003F90: 0A3C3CFA FF015E42
	v_mul_f32_dpp v31, v66, v31 row_newbcast:15 row_mask:0xf bank_mask:0xf// 000000003F98: 0A3E3EFA FF015F42
	buffer_load_dwordx4 a[48:51], v110, s[12:15], 0 offen offset:2048// 000000003FA0: E05C1800 8083306E
	v_mov_b32_e32 v92, v16                                     // 000000003FA8: 7EB80310
	v_max3_f32 v92, v16, v17, v92                              // 000000003FAC: D1D3005C 05722310
	v_max3_f32 v92, v18, v19, v92                              // 000000003FB4: D1D3005C 05722712
	v_max3_f32 v92, v20, v21, v92                              // 000000003FBC: D1D3005C 05722B14
	v_max3_f32 v92, v22, v23, v92                              // 000000003FC4: D1D3005C 05722F16
	v_max3_f32 v92, v24, v25, v92                              // 000000003FCC: D1D3005C 05723318
	v_max3_f32 v92, v26, v27, v92                              // 000000003FD4: D1D3005C 0572371A
	v_max3_f32 v92, v28, v29, v92                              // 000000003FDC: D1D3005C 05723B1C
	v_max3_f32 v92, v30, v31, v92                              // 000000003FE4: D1D3005C 05723F1E
	ds_write_b32 v128, v92                                     // 000000003FEC: D81A0000 00005C80
	v_pk_mul_f32 v[56:57], v[94:95], v[56:57]                  // 000000003FF4: D3B14038 1802715E
	v_pk_mul_f32 v[58:59], v[94:95], v[58:59]                  // 000000003FFC: D3B1403A 1802755E
	v_pk_mul_f32 v[60:61], v[94:95], v[60:61]                  // 000000004004: D3B1403C 1802795E
	v_pk_mul_f32 v[62:63], v[94:95], v[62:63]                  // 00000000400C: D3B1403E 18027D5E
	buffer_load_dwordx4 a[52:55], v111, s[12:15], 0 offen offset:2048// 000000004014: E05C1800 8083346F
	s_waitcnt lgkmcnt(0)                                       // 00000000401C: BF8CC07F
	s_barrier                                                  // 000000004020: BF8A0000
	ds_read_b32 v76, v129                                      // 000000004024: D86C0000 4C000081
	ds_read_b32 v77, v129 offset:64                            // 00000000402C: D86C0040 4D000081
	ds_read_b32 v78, v129 offset:128                           // 000000004034: D86C0080 4E000081
	ds_read_b32 v79, v129 offset:192                           // 00000000403C: D86C00C0 4F000081
	ds_read_b32 v80, v129 offset:256                           // 000000004044: D86C0100 50000081
	ds_read_b32 v81, v129 offset:320                           // 00000000404C: D86C0140 51000081
	ds_read_b32 v82, v129 offset:384                           // 000000004054: D86C0180 52000081
	ds_read_b32 v83, v129 offset:448                           // 00000000405C: D86C01C0 53000081
	ds_read_b32 v84, v129 offset:512                           // 000000004064: D86C0200 54000081
	ds_read_b32 v85, v129 offset:576                           // 00000000406C: D86C0240 55000081
	ds_read_b32 v86, v129 offset:640                           // 000000004074: D86C0280 56000081
	ds_read_b32 v87, v129 offset:704                           // 00000000407C: D86C02C0 57000081
	ds_read_b32 v88, v129 offset:768                           // 000000004084: D86C0300 58000081
	ds_read_b32 v89, v129 offset:832                           // 00000000408C: D86C0340 59000081
	ds_read_b32 v90, v129 offset:896                           // 000000004094: D86C0380 5A000081
	ds_read_b32 v91, v129 offset:960                           // 00000000409C: D86C03C0 5B000081
	buffer_load_dwordx4 a[60:63], v111, s[12:15], 0 offen offset:3072// 0000000040A4: E05C1C00 80833C6F
	v_pk_mul_f32 v[48:49], v[70:71], v[48:49]                  // 0000000040AC: D3B14030 18026146
	v_pk_mul_f32 v[50:51], v[70:71], v[50:51]                  // 0000000040B4: D3B14032 18026546
	v_pk_mul_f32 v[52:53], v[70:71], v[52:53]                  // 0000000040BC: D3B14034 18026946
	v_pk_mul_f32 v[54:55], v[70:71], v[54:55]                  // 0000000040C4: D3B14036 18026D46
	buffer_load_dwordx4 a[56:59], v110, s[12:15], 0 offen offset:3072// 0000000040CC: E05C1C00 8083386E
	s_waitcnt lgkmcnt(0)                                       // 0000000040D4: BF8CC07F
	v_max3_f32 v92, v76, v77, v92                              // 0000000040D8: D1D3005C 05729B4C
	v_max3_f32 v92, v78, v79, v92                              // 0000000040E0: D1D3005C 05729F4E
	v_max3_f32 v92, v80, v81, v92                              // 0000000040E8: D1D3005C 0572A350
	v_max3_f32 v92, v82, v83, v92                              // 0000000040F0: D1D3005C 0572A752
	v_max3_f32 v92, v84, v85, v92                              // 0000000040F8: D1D3005C 0572AB54
	v_max3_f32 v92, v86, v87, v92                              // 000000004100: D1D3005C 0572AF56
	v_max3_f32 v92, v88, v89, v92                              // 000000004108: D1D3005C 0572B358
	v_max3_f32 v92, v90, v91, v92                              // 000000004110: D1D3005C 0572B75A
	v_max_f32_e32 v97, v92, v96                                // 000000004118: 16C2C15C
	v_mul_f32_e64 v72, -s46, v97                               // 00000000411C: D1050048 2002C22E
	v_mov_b32_e32 v73, v72                                     // 000000004124: 7E920348
	v_pk_fma_f32 v[16:17], v[16:17], s[46:47], v[72:73]        // 000000004128: D3B04010 1D205D10
	v_pk_fma_f32 v[18:19], v[18:19], s[46:47], v[72:73]        // 000000004130: D3B04012 1D205D12
	v_exp_f32_e32 v16, v16                                     // 000000004138: 7E204110
	v_exp_f32_e32 v17, v17                                     // 00000000413C: 7E224111
	v_exp_f32_e32 v18, v18                                     // 000000004140: 7E244112
	v_exp_f32_e32 v19, v19                                     // 000000004144: 7E264113
	v_pk_fma_f32 v[20:21], v[20:21], s[46:47], v[72:73]        // 000000004148: D3B04014 1D205D14
	v_pk_fma_f32 v[22:23], v[22:23], s[46:47], v[72:73]        // 000000004150: D3B04016 1D205D16
	v_exp_f32_e32 v20, v20                                     // 000000004158: 7E284114
	v_exp_f32_e32 v21, v21                                     // 00000000415C: 7E2A4115
	v_exp_f32_e32 v22, v22                                     // 000000004160: 7E2C4116
	v_exp_f32_e32 v23, v23                                     // 000000004164: 7E2E4117
	v_pk_fma_f32 v[24:25], v[24:25], s[46:47], v[72:73]        // 000000004168: D3B04018 1D205D18
	v_pk_fma_f32 v[26:27], v[26:27], s[46:47], v[72:73]        // 000000004170: D3B0401A 1D205D1A
	v_exp_f32_e32 v24, v24                                     // 000000004178: 7E304118
	v_exp_f32_e32 v25, v25                                     // 00000000417C: 7E324119
	v_exp_f32_e32 v26, v26                                     // 000000004180: 7E34411A
	v_exp_f32_e32 v27, v27                                     // 000000004184: 7E36411B
	v_pk_fma_f32 v[28:29], v[28:29], s[46:47], v[72:73]        // 000000004188: D3B0401C 1D205D1C
	v_pk_fma_f32 v[30:31], v[30:31], s[46:47], v[72:73]        // 000000004190: D3B0401E 1D205D1E
	v_exp_f32_e32 v28, v28                                     // 000000004198: 7E38411C
	v_exp_f32_e32 v29, v29                                     // 00000000419C: 7E3A411D
	v_exp_f32_e32 v30, v30                                     // 0000000041A0: 7E3C411E
	v_exp_f32_e32 v31, v31                                     // 0000000041A4: 7E3E411F
	v_mul_f32_dpp v32, v68, v16 row_newbcast:0 row_mask:0xf bank_mask:0xf// 0000000041A8: 0A4020FA FF015044
	v_mul_f32_dpp v33, v68, v17 row_newbcast:1 row_mask:0xf bank_mask:0xf// 0000000041B0: 0A4222FA FF015144
	v_mul_f32_dpp v34, v68, v18 row_newbcast:2 row_mask:0xf bank_mask:0xf// 0000000041B8: 0A4424FA FF015244
	v_mul_f32_dpp v35, v68, v19 row_newbcast:3 row_mask:0xf bank_mask:0xf// 0000000041C0: 0A4626FA FF015344
	v_mul_f32_dpp v36, v68, v20 row_newbcast:4 row_mask:0xf bank_mask:0xf// 0000000041C8: 0A4828FA FF015444
	v_mul_f32_dpp v37, v68, v21 row_newbcast:5 row_mask:0xf bank_mask:0xf// 0000000041D0: 0A4A2AFA FF015544
	v_mul_f32_dpp v38, v68, v22 row_newbcast:6 row_mask:0xf bank_mask:0xf// 0000000041D8: 0A4C2CFA FF015644
	v_mul_f32_dpp v39, v68, v23 row_newbcast:7 row_mask:0xf bank_mask:0xf// 0000000041E0: 0A4E2EFA FF015744
	v_mul_f32_dpp v40, v68, v24 row_newbcast:8 row_mask:0xf bank_mask:0xf// 0000000041E8: 0A5030FA FF015844
	v_mul_f32_dpp v41, v68, v25 row_newbcast:9 row_mask:0xf bank_mask:0xf// 0000000041F0: 0A5232FA FF015944
	v_mul_f32_dpp v42, v68, v26 row_newbcast:10 row_mask:0xf bank_mask:0xf// 0000000041F8: 0A5434FA FF015A44
	v_mul_f32_dpp v43, v68, v27 row_newbcast:11 row_mask:0xf bank_mask:0xf// 000000004200: 0A5636FA FF015B44
	v_mul_f32_dpp v44, v68, v28 row_newbcast:12 row_mask:0xf bank_mask:0xf// 000000004208: 0A5838FA FF015C44
	v_mul_f32_dpp v45, v68, v29 row_newbcast:13 row_mask:0xf bank_mask:0xf// 000000004210: 0A5A3AFA FF015D44
	v_mul_f32_dpp v46, v68, v30 row_newbcast:14 row_mask:0xf bank_mask:0xf// 000000004218: 0A5C3CFA FF015E44
	v_mul_f32_dpp v47, v68, v31 row_newbcast:15 row_mask:0xf bank_mask:0xf// 000000004220: 0A5E3EFA FF015F44
	buffer_load_dword v67, v116, s[20:23], 0 offen             // 000000004228: E0501000 80054374
	v_sub_f32_e32 v94, v96, v97                                // 000000004230: 04BCC360
	v_cmp_eq_u32_e64 s[98:99], v107, v96                       // 000000004234: D0CA0062 0002C16B
	s_nop 0                                                    // 00000000423C: BF800000
	v_cndmask_b32_e64 v94, v94, 0, s[98:99]                    // 000000004240: D100005E 0189015E
	v_mov_b32_e32 v96, v97                                     // 000000004248: 7EC00361
	v_mul_f32_e32 v94, s46, v94                                // 00000000424C: 0ABCBC2E
	v_exp_f32_e32 v94, v94                                     // 000000004250: 7EBC415E
	s_nop 0                                                    // 000000004254: BF800000
	v_mov_b32_e32 v95, v94                                     // 000000004258: 7EBE035E
	buffer_load_dword v69, v117, s[24:27], 0 offen             // 00000000425C: E0501000 80064575
	s_waitcnt lgkmcnt(0)                                       // 000000004264: BF8CC07F
	s_barrier                                                  // 000000004268: BF8A0000
	buffer_load_dwordx4 a[96:99], v112, s[16:19], 0 offen      // 00000000426C: E05C1000 80846070
	v_mul_f32_e32 v98, v94, v98                                // 000000004274: 0AC4C55E
	v_add_f32_e32 v98, v16, v98                                // 000000004278: 02C4C510
	v_add_f32_e32 v98, v17, v98                                // 00000000427C: 02C4C511
	v_add_f32_e32 v98, v18, v98                                // 000000004280: 02C4C512
	v_add_f32_e32 v98, v19, v98                                // 000000004284: 02C4C513
	v_add_f32_e32 v98, v20, v98                                // 000000004288: 02C4C514
	v_add_f32_e32 v98, v21, v98                                // 00000000428C: 02C4C515
	v_add_f32_e32 v98, v22, v98                                // 000000004290: 02C4C516
	v_add_f32_e32 v98, v23, v98                                // 000000004294: 02C4C517
	v_add_f32_e32 v98, v24, v98                                // 000000004298: 02C4C518
	v_add_f32_e32 v98, v25, v98                                // 00000000429C: 02C4C519
	v_add_f32_e32 v98, v26, v98                                // 0000000042A0: 02C4C51A
	v_add_f32_e32 v98, v27, v98                                // 0000000042A4: 02C4C51B
	v_add_f32_e32 v98, v28, v98                                // 0000000042A8: 02C4C51C
	v_add_f32_e32 v98, v29, v98                                // 0000000042AC: 02C4C51D
	v_add_f32_e32 v98, v30, v98                                // 0000000042B0: 02C4C51E
	v_add_f32_e32 v98, v31, v98                                // 0000000042B4: 02C4C51F
	buffer_load_dwordx4 a[100:103], v113, s[16:19], 0 offen    // 0000000042B8: E05C1000 80846471
	s_waitcnt lgkmcnt(0)                                       // 0000000042C0: BF8CC07F
	v_sub_f32_e32 v92, v92, v96                                // 0000000042C4: 04B8C15C
	v_mul_f32_e32 v92, s46, v92                                // 0000000042C8: 0AB8B82E
	v_exp_f32_e32 v92, v92                                     // 0000000042CC: 7EB8415C
	s_nop 0                                                    // 0000000042D0: BF800000
	v_mul_f32_e32 v92, v68, v92                                // 0000000042D4: 0AB8B944
	v_add_f32_e32 v92, 0x3089705f, v92                         // 0000000042D8: 02B8B8FF 3089705F
	v_rcp_f32_e32 v92, v92                                     // 0000000042E0: 7EB8455C
	s_nop 0                                                    // 0000000042E4: BF800000
	v_mul_f32_e32 v92, 0x43700000, v92                         // 0000000042E8: 0AB8B8FF 43700000
	v_mov_b32_e32 v93, v92                                     // 0000000042F0: 7EBA035C
	v_pk_mul_f32 v[16:17], v[92:93], v[32:33]                  // 0000000042F4: D3B14010 1802415C
	v_pk_mul_f32 v[18:19], v[92:93], v[34:35]                  // 0000000042FC: D3B14012 1802455C
	v_pk_mul_f32 v[20:21], v[92:93], v[36:37]                  // 000000004304: D3B14014 1802495C
	v_pk_mul_f32 v[22:23], v[92:93], v[38:39]                  // 00000000430C: D3B14016 18024D5C
	v_pk_mul_f32 v[24:25], v[92:93], v[40:41]                  // 000000004314: D3B14018 1802515C
	v_pk_mul_f32 v[26:27], v[92:93], v[42:43]                  // 00000000431C: D3B1401A 1802555C
	v_pk_mul_f32 v[28:29], v[92:93], v[44:45]                  // 000000004324: D3B1401C 1802595C
	v_pk_mul_f32 v[30:31], v[92:93], v[46:47]                  // 00000000432C: D3B1401E 18025D5C
	v_cvt_pk_fp8_f32 v16, v16, v17                             // 000000004334: D2A20010 00022310
	v_cvt_pk_fp8_f32 v16, v18, v19 op_sel:[0,0,1]              // 00000000433C: D2A24010 00022712
	v_cvt_pk_fp8_f32 v17, v20, v21                             // 000000004344: D2A20011 00022B14
	v_cvt_pk_fp8_f32 v17, v22, v23 op_sel:[0,0,1]              // 00000000434C: D2A24011 00022F16
	v_cvt_pk_fp8_f32 v18, v24, v25                             // 000000004354: D2A20012 00023318
	v_cvt_pk_fp8_f32 v18, v26, v27 op_sel:[0,0,1]              // 00000000435C: D2A24012 0002371A
	v_cvt_pk_fp8_f32 v19, v28, v29                             // 000000004364: D2A20013 00023B1C
	v_cvt_pk_fp8_f32 v19, v30, v31 op_sel:[0,0,1]              // 00000000436C: D2A24013 00023F1E
	ds_write_b32 v130, v16 offset:2560                         // 000000004374: D81A0A00 00001082
	ds_write_b32 v130, v17 offset:3584                         // 00000000437C: D81A0E00 00001182
	ds_write_b32 v130, v18 offset:4608                         // 000000004384: D81A1200 00001282
	ds_write_b32 v130, v19 offset:5632                         // 00000000438C: D81A1600 00001382
	v_rcp_f32_e32 v70, v92                                     // 000000004394: 7E8C455C
	s_nop 0                                                    // 000000004398: BF800000
	v_mov_b32_e32 v71, v70                                     // 00000000439C: 7E8E0346
	buffer_load_dwordx4 a[104:107], v114, s[16:19], 0 offen    // 0000000043A0: E05C1000 80846872
	v_pk_add_f32 v[56:57], v[56:57], v[48:49]                  // 0000000043A8: D3B24038 18026138
	v_pk_add_f32 v[58:59], v[58:59], v[50:51]                  // 0000000043B0: D3B2403A 1802653A
	v_pk_add_f32 v[60:61], v[60:61], v[52:53]                  // 0000000043B8: D3B2403C 1802693C
	v_pk_add_f32 v[62:63], v[62:63], v[54:55]                  // 0000000043C0: D3B2403E 18026D3E
	s_waitcnt lgkmcnt(0)                                       // 0000000043C8: BF8CC07F
	s_barrier                                                  // 0000000043CC: BF8A0000
	ds_read_b128 v[16:19], v131 offset:2560                    // 0000000043D0: D9FE0A00 10000083
	ds_read_b128 v[20:23], v131 offset:3584                    // 0000000043D8: D9FE0E00 14000083
	ds_read_b128 v[24:27], v131 offset:4608                    // 0000000043E0: D9FE1200 18000083
	ds_read_b128 v[28:31], v131 offset:5632                    // 0000000043E8: D9FE1600 1C000083
	buffer_load_dwordx4 a[108:111], v115, s[16:19], 0 offen    // 0000000043F0: E05C1000 80846C73
	s_waitcnt vmcnt(14)                                        // 0000000043F8: BF8C0F7E
	s_waitcnt lgkmcnt(3)                                       // 0000000043FC: BF8CC37F
	v_mfma_f32_16x16x32_fp8_fp8 v[48:51], a[64:65], v[16:17], 0// 000000004400: D3F30030 0A022140
	v_mfma_f32_16x16x32_fp8_fp8 v[52:55], a[80:81], v[16:17], 0// 000000004408: D3F30034 0A022150
	v_mfma_f32_16x16x32_fp8_fp8 v[48:51], a[66:67], v[18:19], v[48:51]// 000000004410: D3F30030 0CC22542
	buffer_load_dwordx4 a[112:115], v112, s[16:19], 0 offen offset:1024// 000000004418: E05C1400 80847070
	v_mfma_f32_16x16x32_fp8_fp8 v[52:55], a[82:83], v[18:19], v[52:55]// 000000004420: D3F30034 0CD22552
	s_waitcnt lgkmcnt(2)                                       // 000000004428: BF8CC27F
	v_mfma_f32_16x16x32_fp8_fp8 v[48:51], a[68:69], v[20:21], v[48:51]// 00000000442C: D3F30030 0CC22944
	v_mfma_f32_16x16x32_fp8_fp8 v[52:55], a[84:85], v[20:21], v[52:55]// 000000004434: D3F30034 0CD22954
	v_mfma_f32_16x16x32_fp8_fp8 v[48:51], a[70:71], v[22:23], v[48:51]// 00000000443C: D3F30030 0CC22D46
	buffer_load_dwordx4 a[116:119], v113, s[16:19], 0 offen offset:1024// 000000004444: E05C1400 80847471
	v_mfma_f32_16x16x32_fp8_fp8 v[52:55], a[86:87], v[22:23], v[52:55]// 00000000444C: D3F30034 0CD22D56
	s_waitcnt lgkmcnt(1)                                       // 000000004454: BF8CC17F
	v_mfma_f32_16x16x32_fp8_fp8 v[48:51], a[72:73], v[24:25], v[48:51]// 000000004458: D3F30030 0CC23148
	v_mfma_f32_16x16x32_fp8_fp8 v[52:55], a[88:89], v[24:25], v[52:55]// 000000004460: D3F30034 0CD23158
	v_mfma_f32_16x16x32_fp8_fp8 v[48:51], a[74:75], v[26:27], v[48:51]// 000000004468: D3F30030 0CC2354A
	buffer_load_dwordx4 a[120:123], v114, s[16:19], 0 offen offset:1024// 000000004470: E05C1400 80847872
	v_mfma_f32_16x16x32_fp8_fp8 v[52:55], a[90:91], v[26:27], v[52:55]// 000000004478: D3F30034 0CD2355A
	s_waitcnt lgkmcnt(0)                                       // 000000004480: BF8CC07F
	v_mfma_f32_16x16x32_fp8_fp8 v[48:51], a[76:77], v[28:29], v[48:51]// 000000004484: D3F30030 0CC2394C
	v_mfma_f32_16x16x32_fp8_fp8 v[52:55], a[92:93], v[28:29], v[52:55]// 00000000448C: D3F30034 0CD2395C
	v_mfma_f32_16x16x32_fp8_fp8 v[48:51], a[78:79], v[30:31], v[48:51]// 000000004494: D3F30030 0CC23D4E
	buffer_load_dwordx4 a[124:127], v115, s[16:19], 0 offen offset:1024// 00000000449C: E05C1400 80847C73
	v_mfma_f32_16x16x32_fp8_fp8 v[52:55], a[94:95], v[30:31], v[52:55]// 0000000044A4: D3F30034 0CD23D5E
	s_addk_i32 s64, 0x100                                      // 0000000044AC: B7400100
	s_cmp_lt_i32 s64, s63                                      // 0000000044B0: BF043F40
	s_cbranch_scc0 label_1B3B                                  // 0000000044B4: BF84138D
	s_waitcnt vmcnt(10)                                        // 0000000044B8: BF8C0F7A
	v_mfma_f32_16x16x32_fp8_fp8 v[16:19], a[32:33], v[8:9], 0  // 0000000044BC: D3F30010 0A021120
	s_add_u32 s12, s86, s69                                    // 0000000044C4: 800C4556
	s_addc_u32 s13, s87, 0                                     // 0000000044C8: 820D8057
	v_mfma_f32_16x16x32_fp8_fp8 v[16:19], a[34:35], v[10:11], v[16:19]// 0000000044CC: D3F30010 0C421522
	s_add_u32 s16, s88, s70                                    // 0000000044D4: 80104658
	s_addc_u32 s17, s89, 0                                     // 0000000044D8: 82118059
	v_mfma_f32_16x16x32_fp8_fp8 v[16:19], a[36:37], v[12:13], v[16:19]// 0000000044DC: D3F30010 0C421924
	buffer_load_dwordx4 a[0:3], v110, s[12:15], 0 offen        // 0000000044E4: E05C1000 8083006E
	v_mfma_f32_16x16x32_fp8_fp8 v[16:19], a[38:39], v[14:15], v[16:19]// 0000000044EC: D3F30010 0C421D26
	s_add_u32 s20, s90, s71                                    // 0000000044F4: 8014475A
	s_addc_u32 s21, s91, 0                                     // 0000000044F8: 8215805B
	v_mfma_f32_16x16x32_fp8_fp8 v[20:23], a[40:41], v[8:9], 0  // 0000000044FC: D3F30014 0A021128
	s_add_u32 s24, s92, s71                                    // 000000004504: 8018475C
	s_addc_u32 s25, s93, 0                                     // 000000004508: 8219805D
	v_mfma_f32_16x16x32_fp8_fp8 v[20:23], a[42:43], v[10:11], v[20:23]// 00000000450C: D3F30014 0C52152A
	s_add_u32 s69, s69, 0x1000                                 // 000000004514: 8045FF45 00001000
	s_add_u32 s70, s70, 0x8000                                 // 00000000451C: 8046FF46 00008000
	v_mfma_f32_16x16x32_fp8_fp8 v[20:23], a[44:45], v[12:13], v[20:23]// 000000004524: D3F30014 0C52192C
	buffer_load_dwordx4 a[4:7], v111, s[12:15], 0 offen        // 00000000452C: E05C1000 8083046F
	v_mfma_f32_16x16x32_fp8_fp8 v[20:23], a[46:47], v[14:15], v[20:23]// 000000004534: D3F30014 0C521D2E
	v_mfma_f32_16x16x32_fp8_fp8 v[24:27], a[48:49], v[8:9], 0  // 00000000453C: D3F30018 0A021130
	v_mfma_f32_16x16x32_fp8_fp8 v[24:27], a[50:51], v[10:11], v[24:27]// 000000004544: D3F30018 0C621532
	v_mfma_f32_16x16x32_fp8_fp8 v[24:27], a[52:53], v[12:13], v[24:27]// 00000000454C: D3F30018 0C621934
	buffer_load_dwordx4 a[8:11], v110, s[12:15], 0 offen offset:1024// 000000004554: E05C1400 8083086E
	v_mfma_f32_16x16x32_fp8_fp8 v[24:27], a[54:55], v[14:15], v[24:27]// 00000000455C: D3F30018 0C621D36
	v_mfma_f32_16x16x32_fp8_fp8 v[28:31], a[56:57], v[8:9], 0  // 000000004564: D3F3001C 0A021138
	v_mfma_f32_16x16x32_fp8_fp8 v[28:31], a[58:59], v[10:11], v[28:31]// 00000000456C: D3F3001C 0C72153A
	v_mfma_f32_16x16x32_fp8_fp8 v[28:31], a[60:61], v[12:13], v[28:31]// 000000004574: D3F3001C 0C72193C
	buffer_load_dwordx4 a[12:15], v111, s[12:15], 0 offen offset:1024// 00000000457C: E05C1400 80830C6F
	v_mfma_f32_16x16x32_fp8_fp8 v[28:31], a[62:63], v[14:15], v[28:31]// 000000004584: D3F3001C 0C721D3E
	s_waitcnt vmcnt(12)                                        // 00000000458C: BF8C0F7C
	v_pk_mul_f32 v[16:17], v[64:65], v[16:17]                  // 000000004590: D3B14010 18022140
	v_pk_mul_f32 v[18:19], v[64:65], v[18:19]                  // 000000004598: D3B14012 18022540
	v_mul_f32_dpp v16, v67, v16 row_newbcast:0 row_mask:0xf bank_mask:0xf// 0000000045A0: 0A2020FA FF015043
	v_mul_f32_dpp v17, v67, v17 row_newbcast:1 row_mask:0xf bank_mask:0xf// 0000000045A8: 0A2222FA FF015143
	v_mul_f32_dpp v18, v67, v18 row_newbcast:2 row_mask:0xf bank_mask:0xf// 0000000045B0: 0A2424FA FF015243
	v_mul_f32_dpp v19, v67, v19 row_newbcast:3 row_mask:0xf bank_mask:0xf// 0000000045B8: 0A2626FA FF015343
	v_pk_mul_f32 v[20:21], v[64:65], v[20:21]                  // 0000000045C0: D3B14014 18022940
	v_pk_mul_f32 v[22:23], v[64:65], v[22:23]                  // 0000000045C8: D3B14016 18022D40
	v_mul_f32_dpp v20, v67, v20 row_newbcast:4 row_mask:0xf bank_mask:0xf// 0000000045D0: 0A2828FA FF015443
	v_mul_f32_dpp v21, v67, v21 row_newbcast:5 row_mask:0xf bank_mask:0xf// 0000000045D8: 0A2A2AFA FF015543
	v_mul_f32_dpp v22, v67, v22 row_newbcast:6 row_mask:0xf bank_mask:0xf// 0000000045E0: 0A2C2CFA FF015643
	v_mul_f32_dpp v23, v67, v23 row_newbcast:7 row_mask:0xf bank_mask:0xf// 0000000045E8: 0A2E2EFA FF015743
	v_pk_mul_f32 v[24:25], v[64:65], v[24:25]                  // 0000000045F0: D3B14018 18023140
	v_pk_mul_f32 v[26:27], v[64:65], v[26:27]                  // 0000000045F8: D3B1401A 18023540
	v_mul_f32_dpp v24, v67, v24 row_newbcast:8 row_mask:0xf bank_mask:0xf// 000000004600: 0A3030FA FF015843
	v_mul_f32_dpp v25, v67, v25 row_newbcast:9 row_mask:0xf bank_mask:0xf// 000000004608: 0A3232FA FF015943
	v_mul_f32_dpp v26, v67, v26 row_newbcast:10 row_mask:0xf bank_mask:0xf// 000000004610: 0A3434FA FF015A43
	v_mul_f32_dpp v27, v67, v27 row_newbcast:11 row_mask:0xf bank_mask:0xf// 000000004618: 0A3636FA FF015B43
	v_pk_mul_f32 v[28:29], v[64:65], v[28:29]                  // 000000004620: D3B1401C 18023940
	v_pk_mul_f32 v[30:31], v[64:65], v[30:31]                  // 000000004628: D3B1401E 18023D40
	v_mul_f32_dpp v28, v67, v28 row_newbcast:12 row_mask:0xf bank_mask:0xf// 000000004630: 0A3838FA FF015C43
	v_mul_f32_dpp v29, v67, v29 row_newbcast:13 row_mask:0xf bank_mask:0xf// 000000004638: 0A3A3AFA FF015D43
	v_mul_f32_dpp v30, v67, v30 row_newbcast:14 row_mask:0xf bank_mask:0xf// 000000004640: 0A3C3CFA FF015E43
	v_mul_f32_dpp v31, v67, v31 row_newbcast:15 row_mask:0xf bank_mask:0xf// 000000004648: 0A3E3EFA FF015F43
	buffer_load_dwordx4 a[16:19], v110, s[12:15], 0 offen offset:2048// 000000004650: E05C1800 8083106E
	v_mov_b32_e32 v92, v16                                     // 000000004658: 7EB80310
	v_max3_f32 v92, v16, v17, v92                              // 00000000465C: D1D3005C 05722310
	v_max3_f32 v92, v18, v19, v92                              // 000000004664: D1D3005C 05722712
	v_max3_f32 v92, v20, v21, v92                              // 00000000466C: D1D3005C 05722B14
	v_max3_f32 v92, v22, v23, v92                              // 000000004674: D1D3005C 05722F16
	v_max3_f32 v92, v24, v25, v92                              // 00000000467C: D1D3005C 05723318
	v_max3_f32 v92, v26, v27, v92                              // 000000004684: D1D3005C 0572371A
	v_max3_f32 v92, v28, v29, v92                              // 00000000468C: D1D3005C 05723B1C
	v_max3_f32 v92, v30, v31, v92                              // 000000004694: D1D3005C 05723F1E
	ds_write_b32 v128, v92                                     // 00000000469C: D81A0000 00005C80
	v_pk_mul_f32 v[56:57], v[94:95], v[56:57]                  // 0000000046A4: D3B14038 1802715E
	v_pk_mul_f32 v[58:59], v[94:95], v[58:59]                  // 0000000046AC: D3B1403A 1802755E
	v_pk_mul_f32 v[60:61], v[94:95], v[60:61]                  // 0000000046B4: D3B1403C 1802795E
	v_pk_mul_f32 v[62:63], v[94:95], v[62:63]                  // 0000000046BC: D3B1403E 18027D5E
	buffer_load_dwordx4 a[20:23], v111, s[12:15], 0 offen offset:2048// 0000000046C4: E05C1800 8083146F
	s_waitcnt lgkmcnt(0)                                       // 0000000046CC: BF8CC07F
	s_barrier                                                  // 0000000046D0: BF8A0000
	ds_read_b32 v76, v129                                      // 0000000046D4: D86C0000 4C000081
	ds_read_b32 v77, v129 offset:64                            // 0000000046DC: D86C0040 4D000081
	ds_read_b32 v78, v129 offset:128                           // 0000000046E4: D86C0080 4E000081
	ds_read_b32 v79, v129 offset:192                           // 0000000046EC: D86C00C0 4F000081
	ds_read_b32 v80, v129 offset:256                           // 0000000046F4: D86C0100 50000081
	ds_read_b32 v81, v129 offset:320                           // 0000000046FC: D86C0140 51000081
	ds_read_b32 v82, v129 offset:384                           // 000000004704: D86C0180 52000081
	ds_read_b32 v83, v129 offset:448                           // 00000000470C: D86C01C0 53000081
	ds_read_b32 v84, v129 offset:512                           // 000000004714: D86C0200 54000081
	ds_read_b32 v85, v129 offset:576                           // 00000000471C: D86C0240 55000081
	ds_read_b32 v86, v129 offset:640                           // 000000004724: D86C0280 56000081
	ds_read_b32 v87, v129 offset:704                           // 00000000472C: D86C02C0 57000081
	ds_read_b32 v88, v129 offset:768                           // 000000004734: D86C0300 58000081
	ds_read_b32 v89, v129 offset:832                           // 00000000473C: D86C0340 59000081
	ds_read_b32 v90, v129 offset:896                           // 000000004744: D86C0380 5A000081
	ds_read_b32 v91, v129 offset:960                           // 00000000474C: D86C03C0 5B000081
	buffer_load_dwordx4 a[28:31], v111, s[12:15], 0 offen offset:3072// 000000004754: E05C1C00 80831C6F
	v_pk_mul_f32 v[48:49], v[70:71], v[48:49]                  // 00000000475C: D3B14030 18026146
	v_pk_mul_f32 v[50:51], v[70:71], v[50:51]                  // 000000004764: D3B14032 18026546
	v_pk_mul_f32 v[52:53], v[70:71], v[52:53]                  // 00000000476C: D3B14034 18026946
	v_pk_mul_f32 v[54:55], v[70:71], v[54:55]                  // 000000004774: D3B14036 18026D46
	buffer_load_dwordx4 a[24:27], v110, s[12:15], 0 offen offset:3072// 00000000477C: E05C1C00 8083186E
	s_waitcnt lgkmcnt(0)                                       // 000000004784: BF8CC07F
	v_max3_f32 v92, v76, v77, v92                              // 000000004788: D1D3005C 05729B4C
	v_max3_f32 v92, v78, v79, v92                              // 000000004790: D1D3005C 05729F4E
	v_max3_f32 v92, v80, v81, v92                              // 000000004798: D1D3005C 0572A350
	v_max3_f32 v92, v82, v83, v92                              // 0000000047A0: D1D3005C 0572A752
	v_max3_f32 v92, v84, v85, v92                              // 0000000047A8: D1D3005C 0572AB54
	v_max3_f32 v92, v86, v87, v92                              // 0000000047B0: D1D3005C 0572AF56
	v_max3_f32 v92, v88, v89, v92                              // 0000000047B8: D1D3005C 0572B358
	v_max3_f32 v92, v90, v91, v92                              // 0000000047C0: D1D3005C 0572B75A
	v_max_f32_e32 v97, v92, v96                                // 0000000047C8: 16C2C15C
	v_mul_f32_e64 v72, -s46, v97                               // 0000000047CC: D1050048 2002C22E
	v_mov_b32_e32 v73, v72                                     // 0000000047D4: 7E920348
	v_pk_fma_f32 v[16:17], v[16:17], s[46:47], v[72:73]        // 0000000047D8: D3B04010 1D205D10
	v_pk_fma_f32 v[18:19], v[18:19], s[46:47], v[72:73]        // 0000000047E0: D3B04012 1D205D12
	v_exp_f32_e32 v16, v16                                     // 0000000047E8: 7E204110
	v_exp_f32_e32 v17, v17                                     // 0000000047EC: 7E224111
	v_exp_f32_e32 v18, v18                                     // 0000000047F0: 7E244112
	v_exp_f32_e32 v19, v19                                     // 0000000047F4: 7E264113
	v_pk_fma_f32 v[20:21], v[20:21], s[46:47], v[72:73]        // 0000000047F8: D3B04014 1D205D14
	v_pk_fma_f32 v[22:23], v[22:23], s[46:47], v[72:73]        // 000000004800: D3B04016 1D205D16
	v_exp_f32_e32 v20, v20                                     // 000000004808: 7E284114
	v_exp_f32_e32 v21, v21                                     // 00000000480C: 7E2A4115
	v_exp_f32_e32 v22, v22                                     // 000000004810: 7E2C4116
	v_exp_f32_e32 v23, v23                                     // 000000004814: 7E2E4117
	v_pk_fma_f32 v[24:25], v[24:25], s[46:47], v[72:73]        // 000000004818: D3B04018 1D205D18
	v_pk_fma_f32 v[26:27], v[26:27], s[46:47], v[72:73]        // 000000004820: D3B0401A 1D205D1A
	v_exp_f32_e32 v24, v24                                     // 000000004828: 7E304118
	v_exp_f32_e32 v25, v25                                     // 00000000482C: 7E324119
	v_exp_f32_e32 v26, v26                                     // 000000004830: 7E34411A
	v_exp_f32_e32 v27, v27                                     // 000000004834: 7E36411B
	v_pk_fma_f32 v[28:29], v[28:29], s[46:47], v[72:73]        // 000000004838: D3B0401C 1D205D1C
	v_pk_fma_f32 v[30:31], v[30:31], s[46:47], v[72:73]        // 000000004840: D3B0401E 1D205D1E
	v_exp_f32_e32 v28, v28                                     // 000000004848: 7E38411C
	v_exp_f32_e32 v29, v29                                     // 00000000484C: 7E3A411D
	v_exp_f32_e32 v30, v30                                     // 000000004850: 7E3C411E
	v_exp_f32_e32 v31, v31                                     // 000000004854: 7E3E411F
	v_mul_f32_dpp v32, v69, v16 row_newbcast:0 row_mask:0xf bank_mask:0xf// 000000004858: 0A4020FA FF015045
	v_mul_f32_dpp v33, v69, v17 row_newbcast:1 row_mask:0xf bank_mask:0xf// 000000004860: 0A4222FA FF015145
	v_mul_f32_dpp v34, v69, v18 row_newbcast:2 row_mask:0xf bank_mask:0xf// 000000004868: 0A4424FA FF015245
	v_mul_f32_dpp v35, v69, v19 row_newbcast:3 row_mask:0xf bank_mask:0xf// 000000004870: 0A4626FA FF015345
	v_mul_f32_dpp v36, v69, v20 row_newbcast:4 row_mask:0xf bank_mask:0xf// 000000004878: 0A4828FA FF015445
	v_mul_f32_dpp v37, v69, v21 row_newbcast:5 row_mask:0xf bank_mask:0xf// 000000004880: 0A4A2AFA FF015545
	v_mul_f32_dpp v38, v69, v22 row_newbcast:6 row_mask:0xf bank_mask:0xf// 000000004888: 0A4C2CFA FF015645
	v_mul_f32_dpp v39, v69, v23 row_newbcast:7 row_mask:0xf bank_mask:0xf// 000000004890: 0A4E2EFA FF015745
	v_mul_f32_dpp v40, v69, v24 row_newbcast:8 row_mask:0xf bank_mask:0xf// 000000004898: 0A5030FA FF015845
	v_mul_f32_dpp v41, v69, v25 row_newbcast:9 row_mask:0xf bank_mask:0xf// 0000000048A0: 0A5232FA FF015945
	v_mul_f32_dpp v42, v69, v26 row_newbcast:10 row_mask:0xf bank_mask:0xf// 0000000048A8: 0A5434FA FF015A45
	v_mul_f32_dpp v43, v69, v27 row_newbcast:11 row_mask:0xf bank_mask:0xf// 0000000048B0: 0A5636FA FF015B45
	v_mul_f32_dpp v44, v69, v28 row_newbcast:12 row_mask:0xf bank_mask:0xf// 0000000048B8: 0A5838FA FF015C45
	v_mul_f32_dpp v45, v69, v29 row_newbcast:13 row_mask:0xf bank_mask:0xf// 0000000048C0: 0A5A3AFA FF015D45
	v_mul_f32_dpp v46, v69, v30 row_newbcast:14 row_mask:0xf bank_mask:0xf// 0000000048C8: 0A5C3CFA FF015E45
	v_mul_f32_dpp v47, v69, v31 row_newbcast:15 row_mask:0xf bank_mask:0xf// 0000000048D0: 0A5E3EFA FF015F45
	buffer_load_dword v66, v116, s[20:23], 0 offen             // 0000000048D8: E0501000 80054274
	v_sub_f32_e32 v94, v96, v97                                // 0000000048E0: 04BCC360
	v_cmp_eq_u32_e64 s[98:99], v107, v96                       // 0000000048E4: D0CA0062 0002C16B
	s_nop 0                                                    // 0000000048EC: BF800000
	v_cndmask_b32_e64 v94, v94, 0, s[98:99]                    // 0000000048F0: D100005E 0189015E
	v_mov_b32_e32 v96, v97                                     // 0000000048F8: 7EC00361
	v_mul_f32_e32 v94, s46, v94                                // 0000000048FC: 0ABCBC2E
	v_exp_f32_e32 v94, v94                                     // 000000004900: 7EBC415E
	s_nop 0                                                    // 000000004904: BF800000
	v_mov_b32_e32 v95, v94                                     // 000000004908: 7EBE035E
	buffer_load_dword v68, v117, s[24:27], 0 offen             // 00000000490C: E0501000 80064475
	s_waitcnt lgkmcnt(0)                                       // 000000004914: BF8CC07F
	s_barrier                                                  // 000000004918: BF8A0000
	buffer_load_dwordx4 a[64:67], v112, s[16:19], 0 offen      // 00000000491C: E05C1000 80844070
	v_mul_f32_e32 v98, v94, v98                                // 000000004924: 0AC4C55E
	v_add_f32_e32 v98, v16, v98                                // 000000004928: 02C4C510
	v_add_f32_e32 v98, v17, v98                                // 00000000492C: 02C4C511
	v_add_f32_e32 v98, v18, v98                                // 000000004930: 02C4C512
	v_add_f32_e32 v98, v19, v98                                // 000000004934: 02C4C513
	v_add_f32_e32 v98, v20, v98                                // 000000004938: 02C4C514
	v_add_f32_e32 v98, v21, v98                                // 00000000493C: 02C4C515
	v_add_f32_e32 v98, v22, v98                                // 000000004940: 02C4C516
	v_add_f32_e32 v98, v23, v98                                // 000000004944: 02C4C517
	v_add_f32_e32 v98, v24, v98                                // 000000004948: 02C4C518
	v_add_f32_e32 v98, v25, v98                                // 00000000494C: 02C4C519
	v_add_f32_e32 v98, v26, v98                                // 000000004950: 02C4C51A
	v_add_f32_e32 v98, v27, v98                                // 000000004954: 02C4C51B
	v_add_f32_e32 v98, v28, v98                                // 000000004958: 02C4C51C
	v_add_f32_e32 v98, v29, v98                                // 00000000495C: 02C4C51D
	v_add_f32_e32 v98, v30, v98                                // 000000004960: 02C4C51E
	v_add_f32_e32 v98, v31, v98                                // 000000004964: 02C4C51F
	buffer_load_dwordx4 a[68:71], v113, s[16:19], 0 offen      // 000000004968: E05C1000 80844471
	s_waitcnt lgkmcnt(0)                                       // 000000004970: BF8CC07F
	v_sub_f32_e32 v92, v92, v96                                // 000000004974: 04B8C15C
	v_mul_f32_e32 v92, s46, v92                                // 000000004978: 0AB8B82E
	v_exp_f32_e32 v92, v92                                     // 00000000497C: 7EB8415C
	s_nop 0                                                    // 000000004980: BF800000
	v_mul_f32_e32 v92, v69, v92                                // 000000004984: 0AB8B945
	v_add_f32_e32 v92, 0x3089705f, v92                         // 000000004988: 02B8B8FF 3089705F
	v_rcp_f32_e32 v92, v92                                     // 000000004990: 7EB8455C
	s_nop 0                                                    // 000000004994: BF800000
	v_mul_f32_e32 v92, 0x43700000, v92                         // 000000004998: 0AB8B8FF 43700000
	v_mov_b32_e32 v93, v92                                     // 0000000049A0: 7EBA035C
	v_pk_mul_f32 v[16:17], v[92:93], v[32:33]                  // 0000000049A4: D3B14010 1802415C
	v_pk_mul_f32 v[18:19], v[92:93], v[34:35]                  // 0000000049AC: D3B14012 1802455C
	v_pk_mul_f32 v[20:21], v[92:93], v[36:37]                  // 0000000049B4: D3B14014 1802495C
	v_pk_mul_f32 v[22:23], v[92:93], v[38:39]                  // 0000000049BC: D3B14016 18024D5C
	v_pk_mul_f32 v[24:25], v[92:93], v[40:41]                  // 0000000049C4: D3B14018 1802515C
	v_pk_mul_f32 v[26:27], v[92:93], v[42:43]                  // 0000000049CC: D3B1401A 1802555C
	v_pk_mul_f32 v[28:29], v[92:93], v[44:45]                  // 0000000049D4: D3B1401C 1802595C
	v_pk_mul_f32 v[30:31], v[92:93], v[46:47]                  // 0000000049DC: D3B1401E 18025D5C
	v_cvt_pk_fp8_f32 v16, v16, v17                             // 0000000049E4: D2A20010 00022310
	v_cvt_pk_fp8_f32 v16, v18, v19 op_sel:[0,0,1]              // 0000000049EC: D2A24010 00022712
	v_cvt_pk_fp8_f32 v17, v20, v21                             // 0000000049F4: D2A20011 00022B14
	v_cvt_pk_fp8_f32 v17, v22, v23 op_sel:[0,0,1]              // 0000000049FC: D2A24011 00022F16
	v_cvt_pk_fp8_f32 v18, v24, v25                             // 000000004A04: D2A20012 00023318
	v_cvt_pk_fp8_f32 v18, v26, v27 op_sel:[0,0,1]              // 000000004A0C: D2A24012 0002371A
	v_cvt_pk_fp8_f32 v19, v28, v29                             // 000000004A14: D2A20013 00023B1C
	v_cvt_pk_fp8_f32 v19, v30, v31 op_sel:[0,0,1]              // 000000004A1C: D2A24013 00023F1E
	ds_write_b32 v130, v16 offset:2560                         // 000000004A24: D81A0A00 00001082
	ds_write_b32 v130, v17 offset:3584                         // 000000004A2C: D81A0E00 00001182
	ds_write_b32 v130, v18 offset:4608                         // 000000004A34: D81A1200 00001282
	ds_write_b32 v130, v19 offset:5632                         // 000000004A3C: D81A1600 00001382
	v_rcp_f32_e32 v70, v92                                     // 000000004A44: 7E8C455C
	s_nop 0                                                    // 000000004A48: BF800000
	v_mov_b32_e32 v71, v70                                     // 000000004A4C: 7E8E0346
	buffer_load_dwordx4 a[72:75], v114, s[16:19], 0 offen      // 000000004A50: E05C1000 80844872
	v_pk_add_f32 v[56:57], v[56:57], v[48:49]                  // 000000004A58: D3B24038 18026138
	v_pk_add_f32 v[58:59], v[58:59], v[50:51]                  // 000000004A60: D3B2403A 1802653A
	v_pk_add_f32 v[60:61], v[60:61], v[52:53]                  // 000000004A68: D3B2403C 1802693C
	v_pk_add_f32 v[62:63], v[62:63], v[54:55]                  // 000000004A70: D3B2403E 18026D3E
	s_waitcnt lgkmcnt(0)                                       // 000000004A78: BF8CC07F
	s_barrier                                                  // 000000004A7C: BF8A0000
	ds_read_b128 v[16:19], v131 offset:2560                    // 000000004A80: D9FE0A00 10000083
	ds_read_b128 v[20:23], v131 offset:3584                    // 000000004A88: D9FE0E00 14000083
	ds_read_b128 v[24:27], v131 offset:4608                    // 000000004A90: D9FE1200 18000083
	ds_read_b128 v[28:31], v131 offset:5632                    // 000000004A98: D9FE1600 1C000083
	buffer_load_dwordx4 a[76:79], v115, s[16:19], 0 offen      // 000000004AA0: E05C1000 80844C73
	s_waitcnt vmcnt(14)                                        // 000000004AA8: BF8C0F7E
	s_waitcnt lgkmcnt(3)                                       // 000000004AAC: BF8CC37F
	v_mfma_f32_16x16x32_fp8_fp8 v[48:51], a[96:97], v[16:17], 0// 000000004AB0: D3F30030 0A022160
	v_mfma_f32_16x16x32_fp8_fp8 v[52:55], a[112:113], v[16:17], 0// 000000004AB8: D3F30034 0A022170
	v_mfma_f32_16x16x32_fp8_fp8 v[48:51], a[98:99], v[18:19], v[48:51]// 000000004AC0: D3F30030 0CC22562
	buffer_load_dwordx4 a[80:83], v112, s[16:19], 0 offen offset:1024// 000000004AC8: E05C1400 80845070
	v_mfma_f32_16x16x32_fp8_fp8 v[52:55], a[114:115], v[18:19], v[52:55]// 000000004AD0: D3F30034 0CD22572
	s_waitcnt lgkmcnt(2)                                       // 000000004AD8: BF8CC27F
	v_mfma_f32_16x16x32_fp8_fp8 v[48:51], a[100:101], v[20:21], v[48:51]// 000000004ADC: D3F30030 0CC22964
	v_mfma_f32_16x16x32_fp8_fp8 v[52:55], a[116:117], v[20:21], v[52:55]// 000000004AE4: D3F30034 0CD22974
	v_mfma_f32_16x16x32_fp8_fp8 v[48:51], a[102:103], v[22:23], v[48:51]// 000000004AEC: D3F30030 0CC22D66
	buffer_load_dwordx4 a[84:87], v113, s[16:19], 0 offen offset:1024// 000000004AF4: E05C1400 80845471
	v_mfma_f32_16x16x32_fp8_fp8 v[52:55], a[118:119], v[22:23], v[52:55]// 000000004AFC: D3F30034 0CD22D76
	s_waitcnt lgkmcnt(1)                                       // 000000004B04: BF8CC17F
	v_mfma_f32_16x16x32_fp8_fp8 v[48:51], a[104:105], v[24:25], v[48:51]// 000000004B08: D3F30030 0CC23168
	v_mfma_f32_16x16x32_fp8_fp8 v[52:55], a[120:121], v[24:25], v[52:55]// 000000004B10: D3F30034 0CD23178
	v_mfma_f32_16x16x32_fp8_fp8 v[48:51], a[106:107], v[26:27], v[48:51]// 000000004B18: D3F30030 0CC2356A
	buffer_load_dwordx4 a[88:91], v114, s[16:19], 0 offen offset:1024// 000000004B20: E05C1400 80845872
	v_mfma_f32_16x16x32_fp8_fp8 v[52:55], a[122:123], v[26:27], v[52:55]// 000000004B28: D3F30034 0CD2357A
	s_waitcnt lgkmcnt(0)                                       // 000000004B30: BF8CC07F
	v_mfma_f32_16x16x32_fp8_fp8 v[48:51], a[108:109], v[28:29], v[48:51]// 000000004B34: D3F30030 0CC2396C
	v_mfma_f32_16x16x32_fp8_fp8 v[52:55], a[124:125], v[28:29], v[52:55]// 000000004B3C: D3F30034 0CD2397C
	v_mfma_f32_16x16x32_fp8_fp8 v[48:51], a[110:111], v[30:31], v[48:51]// 000000004B44: D3F30030 0CC23D6E
	buffer_load_dwordx4 a[92:95], v115, s[16:19], 0 offen offset:1024// 000000004B4C: E05C1400 80845C73
	v_mfma_f32_16x16x32_fp8_fp8 v[52:55], a[126:127], v[30:31], v[52:55]// 000000004B54: D3F30034 0CD23D7E
	s_addk_i32 s64, 0x100                                      // 000000004B5C: B7400100
	s_branch label_029F                                        // 000000004B60: BF82F946

0000000000004b64 <label_0959>:
	s_cmp_lt_i32 s64, s63                                      // 000000004B64: BF043F40
	s_cbranch_scc0 label_1013                                  // 000000004B68: BF8406B8
	s_waitcnt vmcnt(10)                                        // 000000004B6C: BF8C0F7A
	v_mfma_f32_16x16x32_fp8_fp8 v[16:19], a[0:1], v[8:9], 0    // 000000004B70: D3F30010 0A021100
	s_add_u32 s12, s86, s69                                    // 000000004B78: 800C4556
	s_addc_u32 s13, s87, 0                                     // 000000004B7C: 820D8057
	v_mfma_f32_16x16x32_fp8_fp8 v[16:19], a[2:3], v[10:11], v[16:19]// 000000004B80: D3F30010 0C421502
	s_add_u32 s16, s88, s70                                    // 000000004B88: 80104658
	s_addc_u32 s17, s89, 0                                     // 000000004B8C: 82118059
	v_mfma_f32_16x16x32_fp8_fp8 v[16:19], a[4:5], v[12:13], v[16:19]// 000000004B90: D3F30010 0C421904
	buffer_load_dwordx4 a[32:35], v110, s[12:15], 0 offen      // 000000004B98: E05C1000 8083206E
	v_mfma_f32_16x16x32_fp8_fp8 v[16:19], a[6:7], v[14:15], v[16:19]// 000000004BA0: D3F30010 0C421D06
	s_add_u32 s20, s90, s71                                    // 000000004BA8: 8014475A
	s_addc_u32 s21, s91, 0                                     // 000000004BAC: 8215805B
	v_mfma_f32_16x16x32_fp8_fp8 v[20:23], a[8:9], v[8:9], 0    // 000000004BB0: D3F30014 0A021108
	s_add_u32 s24, s92, s71                                    // 000000004BB8: 8018475C
	s_addc_u32 s25, s93, 0                                     // 000000004BBC: 8219805D
	v_mfma_f32_16x16x32_fp8_fp8 v[20:23], a[10:11], v[10:11], v[20:23]// 000000004BC0: D3F30014 0C52150A
	s_add_u32 s69, s69, 0x1000                                 // 000000004BC8: 8045FF45 00001000
	s_add_u32 s70, s70, 0x8000                                 // 000000004BD0: 8046FF46 00008000
	v_mfma_f32_16x16x32_fp8_fp8 v[20:23], a[12:13], v[12:13], v[20:23]// 000000004BD8: D3F30014 0C52190C
	buffer_load_dwordx4 a[36:39], v111, s[12:15], 0 offen      // 000000004BE0: E05C1000 8083246F
	v_mfma_f32_16x16x32_fp8_fp8 v[20:23], a[14:15], v[14:15], v[20:23]// 000000004BE8: D3F30014 0C521D0E
	v_mfma_f32_16x16x32_fp8_fp8 v[24:27], a[16:17], v[8:9], 0  // 000000004BF0: D3F30018 0A021110
	v_mfma_f32_16x16x32_fp8_fp8 v[24:27], a[18:19], v[10:11], v[24:27]// 000000004BF8: D3F30018 0C621512
	v_mfma_f32_16x16x32_fp8_fp8 v[24:27], a[20:21], v[12:13], v[24:27]// 000000004C00: D3F30018 0C621914
	buffer_load_dwordx4 a[40:43], v110, s[12:15], 0 offen offset:1024// 000000004C08: E05C1400 8083286E
	v_mfma_f32_16x16x32_fp8_fp8 v[24:27], a[22:23], v[14:15], v[24:27]// 000000004C10: D3F30018 0C621D16
	v_mfma_f32_16x16x32_fp8_fp8 v[28:31], a[24:25], v[8:9], 0  // 000000004C18: D3F3001C 0A021118
	v_mfma_f32_16x16x32_fp8_fp8 v[28:31], a[26:27], v[10:11], v[28:31]// 000000004C20: D3F3001C 0C72151A
	v_mfma_f32_16x16x32_fp8_fp8 v[28:31], a[28:29], v[12:13], v[28:31]// 000000004C28: D3F3001C 0C72191C
	buffer_load_dwordx4 a[44:47], v111, s[12:15], 0 offen offset:1024// 000000004C30: E05C1400 80832C6F
	v_mfma_f32_16x16x32_fp8_fp8 v[28:31], a[30:31], v[14:15], v[28:31]// 000000004C38: D3F3001C 0C721D1E
	s_waitcnt vmcnt(12)                                        // 000000004C40: BF8C0F7C
	v_pk_mul_f32 v[16:17], v[64:65], v[16:17]                  // 000000004C44: D3B14010 18022140
	v_pk_mul_f32 v[18:19], v[64:65], v[18:19]                  // 000000004C4C: D3B14012 18022540
	v_mul_f32_dpp v16, v66, v16 row_newbcast:0 row_mask:0xf bank_mask:0xf// 000000004C54: 0A2020FA FF015042
	v_mul_f32_dpp v17, v66, v17 row_newbcast:1 row_mask:0xf bank_mask:0xf// 000000004C5C: 0A2222FA FF015142
	v_mul_f32_dpp v18, v66, v18 row_newbcast:2 row_mask:0xf bank_mask:0xf// 000000004C64: 0A2424FA FF015242
	v_mul_f32_dpp v19, v66, v19 row_newbcast:3 row_mask:0xf bank_mask:0xf// 000000004C6C: 0A2626FA FF015342
	v_pk_mul_f32 v[20:21], v[64:65], v[20:21]                  // 000000004C74: D3B14014 18022940
	v_pk_mul_f32 v[22:23], v[64:65], v[22:23]                  // 000000004C7C: D3B14016 18022D40
	v_mul_f32_dpp v20, v66, v20 row_newbcast:4 row_mask:0xf bank_mask:0xf// 000000004C84: 0A2828FA FF015442
	v_mul_f32_dpp v21, v66, v21 row_newbcast:5 row_mask:0xf bank_mask:0xf// 000000004C8C: 0A2A2AFA FF015542
	v_mul_f32_dpp v22, v66, v22 row_newbcast:6 row_mask:0xf bank_mask:0xf// 000000004C94: 0A2C2CFA FF015642
	v_mul_f32_dpp v23, v66, v23 row_newbcast:7 row_mask:0xf bank_mask:0xf// 000000004C9C: 0A2E2EFA FF015742
	v_pk_mul_f32 v[24:25], v[64:65], v[24:25]                  // 000000004CA4: D3B14018 18023140
	v_pk_mul_f32 v[26:27], v[64:65], v[26:27]                  // 000000004CAC: D3B1401A 18023540
	v_mul_f32_dpp v24, v66, v24 row_newbcast:8 row_mask:0xf bank_mask:0xf// 000000004CB4: 0A3030FA FF015842
	v_mul_f32_dpp v25, v66, v25 row_newbcast:9 row_mask:0xf bank_mask:0xf// 000000004CBC: 0A3232FA FF015942
	v_mul_f32_dpp v26, v66, v26 row_newbcast:10 row_mask:0xf bank_mask:0xf// 000000004CC4: 0A3434FA FF015A42
	v_mul_f32_dpp v27, v66, v27 row_newbcast:11 row_mask:0xf bank_mask:0xf// 000000004CCC: 0A3636FA FF015B42
	v_pk_mul_f32 v[28:29], v[64:65], v[28:29]                  // 000000004CD4: D3B1401C 18023940
	v_pk_mul_f32 v[30:31], v[64:65], v[30:31]                  // 000000004CDC: D3B1401E 18023D40
	v_mul_f32_dpp v28, v66, v28 row_newbcast:12 row_mask:0xf bank_mask:0xf// 000000004CE4: 0A3838FA FF015C42
	v_mul_f32_dpp v29, v66, v29 row_newbcast:13 row_mask:0xf bank_mask:0xf// 000000004CEC: 0A3A3AFA FF015D42
	v_mul_f32_dpp v30, v66, v30 row_newbcast:14 row_mask:0xf bank_mask:0xf// 000000004CF4: 0A3C3CFA FF015E42
	v_mul_f32_dpp v31, v66, v31 row_newbcast:15 row_mask:0xf bank_mask:0xf// 000000004CFC: 0A3E3EFA FF015F42
	buffer_load_dwordx4 a[48:51], v110, s[12:15], 0 offen offset:2048// 000000004D04: E05C1800 8083306E
	v_mov_b32_e32 v92, v16                                     // 000000004D0C: 7EB80310
	v_max3_f32 v92, v16, v17, v92                              // 000000004D10: D1D3005C 05722310
	v_max3_f32 v92, v18, v19, v92                              // 000000004D18: D1D3005C 05722712
	v_max3_f32 v92, v20, v21, v92                              // 000000004D20: D1D3005C 05722B14
	v_max3_f32 v92, v22, v23, v92                              // 000000004D28: D1D3005C 05722F16
	v_max3_f32 v92, v24, v25, v92                              // 000000004D30: D1D3005C 05723318
	v_max3_f32 v92, v26, v27, v92                              // 000000004D38: D1D3005C 0572371A
	v_max3_f32 v92, v28, v29, v92                              // 000000004D40: D1D3005C 05723B1C
	v_max3_f32 v92, v30, v31, v92                              // 000000004D48: D1D3005C 05723F1E
	ds_write_b32 v128, v92                                     // 000000004D50: D81A0000 00005C80
	v_pk_mul_f32 v[56:57], v[94:95], v[56:57]                  // 000000004D58: D3B14038 1802715E
	v_pk_mul_f32 v[58:59], v[94:95], v[58:59]                  // 000000004D60: D3B1403A 1802755E
	v_pk_mul_f32 v[60:61], v[94:95], v[60:61]                  // 000000004D68: D3B1403C 1802795E
	v_pk_mul_f32 v[62:63], v[94:95], v[62:63]                  // 000000004D70: D3B1403E 18027D5E
	buffer_load_dwordx4 a[52:55], v111, s[12:15], 0 offen offset:2048// 000000004D78: E05C1800 8083346F
	s_waitcnt lgkmcnt(0)                                       // 000000004D80: BF8CC07F
	s_barrier                                                  // 000000004D84: BF8A0000
	v_pk_mul_f32 v[48:49], v[70:71], v[48:49]                  // 000000004D88: D3B14030 18026146
	v_pk_mul_f32 v[50:51], v[70:71], v[50:51]                  // 000000004D90: D3B14032 18026546
	v_pk_mul_f32 v[52:53], v[70:71], v[52:53]                  // 000000004D98: D3B14034 18026946
	v_pk_mul_f32 v[54:55], v[70:71], v[54:55]                  // 000000004DA0: D3B14036 18026D46
	buffer_load_dwordx4 a[56:59], v110, s[12:15], 0 offen offset:3072// 000000004DA8: E05C1C00 8083386E
	ds_read_b32 v76, v129                                      // 000000004DB0: D86C0000 4C000081
	ds_read_b32 v77, v129 offset:64                            // 000000004DB8: D86C0040 4D000081
	ds_read_b32 v78, v129 offset:128                           // 000000004DC0: D86C0080 4E000081
	ds_read_b32 v79, v129 offset:192                           // 000000004DC8: D86C00C0 4F000081
	ds_read_b32 v80, v129 offset:256                           // 000000004DD0: D86C0100 50000081
	ds_read_b32 v81, v129 offset:320                           // 000000004DD8: D86C0140 51000081
	ds_read_b32 v82, v129 offset:384                           // 000000004DE0: D86C0180 52000081
	ds_read_b32 v83, v129 offset:448                           // 000000004DE8: D86C01C0 53000081
	ds_read_b32 v84, v129 offset:512                           // 000000004DF0: D86C0200 54000081
	ds_read_b32 v85, v129 offset:576                           // 000000004DF8: D86C0240 55000081
	ds_read_b32 v86, v129 offset:640                           // 000000004E00: D86C0280 56000081
	ds_read_b32 v87, v129 offset:704                           // 000000004E08: D86C02C0 57000081
	ds_read_b32 v88, v129 offset:768                           // 000000004E10: D86C0300 58000081
	ds_read_b32 v89, v129 offset:832                           // 000000004E18: D86C0340 59000081
	ds_read_b32 v90, v129 offset:896                           // 000000004E20: D86C0380 5A000081
	ds_read_b32 v91, v129 offset:960                           // 000000004E28: D86C03C0 5B000081
	buffer_load_dwordx4 a[60:63], v111, s[12:15], 0 offen offset:3072// 000000004E30: E05C1C00 80833C6F
	s_waitcnt lgkmcnt(0)                                       // 000000004E38: BF8CC07F
	v_max3_f32 v92, v76, v77, v92                              // 000000004E3C: D1D3005C 05729B4C
	v_max3_f32 v92, v78, v79, v92                              // 000000004E44: D1D3005C 05729F4E
	v_max3_f32 v92, v80, v81, v92                              // 000000004E4C: D1D3005C 0572A350
	v_max3_f32 v92, v82, v83, v92                              // 000000004E54: D1D3005C 0572A752
	v_max3_f32 v92, v84, v85, v92                              // 000000004E5C: D1D3005C 0572AB54
	v_max3_f32 v92, v86, v87, v92                              // 000000004E64: D1D3005C 0572AF56
	v_max3_f32 v92, v88, v89, v92                              // 000000004E6C: D1D3005C 0572B358
	v_max3_f32 v92, v90, v91, v92                              // 000000004E74: D1D3005C 0572B75A
	v_max_f32_e32 v97, v92, v96                                // 000000004E7C: 16C2C15C
	v_mul_f32_e64 v72, -s46, v97                               // 000000004E80: D1050048 2002C22E
	v_mov_b32_e32 v73, v72                                     // 000000004E88: 7E920348
	v_pk_fma_f32 v[16:17], v[16:17], s[46:47], v[72:73]        // 000000004E8C: D3B04010 1D205D10
	v_pk_fma_f32 v[18:19], v[18:19], s[46:47], v[72:73]        // 000000004E94: D3B04012 1D205D12
	v_exp_f32_e32 v16, v16                                     // 000000004E9C: 7E204110
	v_exp_f32_e32 v17, v17                                     // 000000004EA0: 7E224111
	v_exp_f32_e32 v18, v18                                     // 000000004EA4: 7E244112
	v_exp_f32_e32 v19, v19                                     // 000000004EA8: 7E264113
	v_pk_fma_f32 v[20:21], v[20:21], s[46:47], v[72:73]        // 000000004EAC: D3B04014 1D205D14
	v_pk_fma_f32 v[22:23], v[22:23], s[46:47], v[72:73]        // 000000004EB4: D3B04016 1D205D16
	v_exp_f32_e32 v20, v20                                     // 000000004EBC: 7E284114
	v_exp_f32_e32 v21, v21                                     // 000000004EC0: 7E2A4115
	v_exp_f32_e32 v22, v22                                     // 000000004EC4: 7E2C4116
	v_exp_f32_e32 v23, v23                                     // 000000004EC8: 7E2E4117
	v_pk_fma_f32 v[24:25], v[24:25], s[46:47], v[72:73]        // 000000004ECC: D3B04018 1D205D18
	v_pk_fma_f32 v[26:27], v[26:27], s[46:47], v[72:73]        // 000000004ED4: D3B0401A 1D205D1A
	v_exp_f32_e32 v24, v24                                     // 000000004EDC: 7E304118
	v_exp_f32_e32 v25, v25                                     // 000000004EE0: 7E324119
	v_exp_f32_e32 v26, v26                                     // 000000004EE4: 7E34411A
	v_exp_f32_e32 v27, v27                                     // 000000004EE8: 7E36411B
	v_pk_fma_f32 v[28:29], v[28:29], s[46:47], v[72:73]        // 000000004EEC: D3B0401C 1D205D1C
	v_pk_fma_f32 v[30:31], v[30:31], s[46:47], v[72:73]        // 000000004EF4: D3B0401E 1D205D1E
	v_exp_f32_e32 v28, v28                                     // 000000004EFC: 7E38411C
	v_exp_f32_e32 v29, v29                                     // 000000004F00: 7E3A411D
	v_exp_f32_e32 v30, v30                                     // 000000004F04: 7E3C411E
	v_exp_f32_e32 v31, v31                                     // 000000004F08: 7E3E411F
	v_mul_f32_dpp v32, v68, v16 row_newbcast:0 row_mask:0xf bank_mask:0xf// 000000004F0C: 0A4020FA FF015044
	v_mul_f32_dpp v33, v68, v17 row_newbcast:1 row_mask:0xf bank_mask:0xf// 000000004F14: 0A4222FA FF015144
	v_mul_f32_dpp v34, v68, v18 row_newbcast:2 row_mask:0xf bank_mask:0xf// 000000004F1C: 0A4424FA FF015244
	v_mul_f32_dpp v35, v68, v19 row_newbcast:3 row_mask:0xf bank_mask:0xf// 000000004F24: 0A4626FA FF015344
	v_mul_f32_dpp v36, v68, v20 row_newbcast:4 row_mask:0xf bank_mask:0xf// 000000004F2C: 0A4828FA FF015444
	v_mul_f32_dpp v37, v68, v21 row_newbcast:5 row_mask:0xf bank_mask:0xf// 000000004F34: 0A4A2AFA FF015544
	v_mul_f32_dpp v38, v68, v22 row_newbcast:6 row_mask:0xf bank_mask:0xf// 000000004F3C: 0A4C2CFA FF015644
	v_mul_f32_dpp v39, v68, v23 row_newbcast:7 row_mask:0xf bank_mask:0xf// 000000004F44: 0A4E2EFA FF015744
	v_mul_f32_dpp v40, v68, v24 row_newbcast:8 row_mask:0xf bank_mask:0xf// 000000004F4C: 0A5030FA FF015844
	v_mul_f32_dpp v41, v68, v25 row_newbcast:9 row_mask:0xf bank_mask:0xf// 000000004F54: 0A5232FA FF015944
	v_mul_f32_dpp v42, v68, v26 row_newbcast:10 row_mask:0xf bank_mask:0xf// 000000004F5C: 0A5434FA FF015A44
	v_mul_f32_dpp v43, v68, v27 row_newbcast:11 row_mask:0xf bank_mask:0xf// 000000004F64: 0A5636FA FF015B44
	v_mul_f32_dpp v44, v68, v28 row_newbcast:12 row_mask:0xf bank_mask:0xf// 000000004F6C: 0A5838FA FF015C44
	v_mul_f32_dpp v45, v68, v29 row_newbcast:13 row_mask:0xf bank_mask:0xf// 000000004F74: 0A5A3AFA FF015D44
	v_mul_f32_dpp v46, v68, v30 row_newbcast:14 row_mask:0xf bank_mask:0xf// 000000004F7C: 0A5C3CFA FF015E44
	v_mul_f32_dpp v47, v68, v31 row_newbcast:15 row_mask:0xf bank_mask:0xf// 000000004F84: 0A5E3EFA FF015F44
	buffer_load_dword v67, v116, s[20:23], 0 offen             // 000000004F8C: E0501000 80054374
	v_sub_f32_e32 v94, v96, v97                                // 000000004F94: 04BCC360
	v_cmp_eq_u32_e64 s[98:99], v107, v96                       // 000000004F98: D0CA0062 0002C16B
	s_nop 0                                                    // 000000004FA0: BF800000
	v_cndmask_b32_e64 v94, v94, 0, s[98:99]                    // 000000004FA4: D100005E 0189015E
	v_mov_b32_e32 v96, v97                                     // 000000004FAC: 7EC00361
	v_mul_f32_e32 v94, s46, v94                                // 000000004FB0: 0ABCBC2E
	v_exp_f32_e32 v94, v94                                     // 000000004FB4: 7EBC415E
	s_nop 0                                                    // 000000004FB8: BF800000
	v_mov_b32_e32 v95, v94                                     // 000000004FBC: 7EBE035E
	buffer_load_dword v69, v117, s[24:27], 0 offen             // 000000004FC0: E0501000 80064575
	s_waitcnt lgkmcnt(0)                                       // 000000004FC8: BF8CC07F
	s_barrier                                                  // 000000004FCC: BF8A0000
	v_mul_f32_e32 v98, v94, v98                                // 000000004FD0: 0AC4C55E
	v_add_f32_e32 v98, v16, v98                                // 000000004FD4: 02C4C510
	v_add_f32_e32 v98, v17, v98                                // 000000004FD8: 02C4C511
	v_add_f32_e32 v98, v18, v98                                // 000000004FDC: 02C4C512
	v_add_f32_e32 v98, v19, v98                                // 000000004FE0: 02C4C513
	v_add_f32_e32 v98, v20, v98                                // 000000004FE4: 02C4C514
	v_add_f32_e32 v98, v21, v98                                // 000000004FE8: 02C4C515
	v_add_f32_e32 v98, v22, v98                                // 000000004FEC: 02C4C516
	v_add_f32_e32 v98, v23, v98                                // 000000004FF0: 02C4C517
	v_add_f32_e32 v98, v24, v98                                // 000000004FF4: 02C4C518
	v_add_f32_e32 v98, v25, v98                                // 000000004FF8: 02C4C519
	v_add_f32_e32 v98, v26, v98                                // 000000004FFC: 02C4C51A
	v_add_f32_e32 v98, v27, v98                                // 000000005000: 02C4C51B
	v_add_f32_e32 v98, v28, v98                                // 000000005004: 02C4C51C
	v_add_f32_e32 v98, v29, v98                                // 000000005008: 02C4C51D
	v_add_f32_e32 v98, v30, v98                                // 00000000500C: 02C4C51E
	v_add_f32_e32 v98, v31, v98                                // 000000005010: 02C4C51F
	buffer_load_dwordx4 a[100:103], v113, s[16:19], 0 offen    // 000000005014: E05C1000 80846471
	buffer_load_dwordx4 a[96:99], v112, s[16:19], 0 offen      // 00000000501C: E05C1000 80846070
	s_waitcnt lgkmcnt(0)                                       // 000000005024: BF8CC07F
	v_sub_f32_e32 v92, v92, v96                                // 000000005028: 04B8C15C
	v_mul_f32_e32 v92, s46, v92                                // 00000000502C: 0AB8B82E
	v_exp_f32_e32 v92, v92                                     // 000000005030: 7EB8415C
	s_nop 0                                                    // 000000005034: BF800000
	v_mul_f32_e32 v92, v68, v92                                // 000000005038: 0AB8B944
	v_add_f32_e32 v92, 0x3089705f, v92                         // 00000000503C: 02B8B8FF 3089705F
	v_rcp_f32_e32 v92, v92                                     // 000000005044: 7EB8455C
	s_nop 0                                                    // 000000005048: BF800000
	v_mul_f32_e32 v92, 0x43700000, v92                         // 00000000504C: 0AB8B8FF 43700000
	v_mov_b32_e32 v93, v92                                     // 000000005054: 7EBA035C
	v_pk_mul_f32 v[16:17], v[92:93], v[32:33]                  // 000000005058: D3B14010 1802415C
	v_pk_mul_f32 v[18:19], v[92:93], v[34:35]                  // 000000005060: D3B14012 1802455C
	v_pk_mul_f32 v[20:21], v[92:93], v[36:37]                  // 000000005068: D3B14014 1802495C
	v_pk_mul_f32 v[22:23], v[92:93], v[38:39]                  // 000000005070: D3B14016 18024D5C
	v_pk_mul_f32 v[24:25], v[92:93], v[40:41]                  // 000000005078: D3B14018 1802515C
	v_pk_mul_f32 v[26:27], v[92:93], v[42:43]                  // 000000005080: D3B1401A 1802555C
	v_pk_mul_f32 v[28:29], v[92:93], v[44:45]                  // 000000005088: D3B1401C 1802595C
	v_pk_mul_f32 v[30:31], v[92:93], v[46:47]                  // 000000005090: D3B1401E 18025D5C
	v_cvt_pk_fp8_f32 v16, v16, v17                             // 000000005098: D2A20010 00022310
	v_cvt_pk_fp8_f32 v16, v18, v19 op_sel:[0,0,1]              // 0000000050A0: D2A24010 00022712
	v_cvt_pk_fp8_f32 v17, v20, v21                             // 0000000050A8: D2A20011 00022B14
	v_cvt_pk_fp8_f32 v17, v22, v23 op_sel:[0,0,1]              // 0000000050B0: D2A24011 00022F16
	v_cvt_pk_fp8_f32 v18, v24, v25                             // 0000000050B8: D2A20012 00023318
	v_cvt_pk_fp8_f32 v18, v26, v27 op_sel:[0,0,1]              // 0000000050C0: D2A24012 0002371A
	v_cvt_pk_fp8_f32 v19, v28, v29                             // 0000000050C8: D2A20013 00023B1C
	v_cvt_pk_fp8_f32 v19, v30, v31 op_sel:[0,0,1]              // 0000000050D0: D2A24013 00023F1E
	ds_write_b32 v130, v16 offset:2560                         // 0000000050D8: D81A0A00 00001082
	ds_write_b32 v130, v17 offset:3584                         // 0000000050E0: D81A0E00 00001182
	ds_write_b32 v130, v18 offset:4608                         // 0000000050E8: D81A1200 00001282
	ds_write_b32 v130, v19 offset:5632                         // 0000000050F0: D81A1600 00001382
	v_rcp_f32_e32 v70, v92                                     // 0000000050F8: 7E8C455C
	s_nop 0                                                    // 0000000050FC: BF800000
	v_mov_b32_e32 v71, v70                                     // 000000005100: 7E8E0346
	buffer_load_dwordx4 a[104:107], v114, s[16:19], 0 offen    // 000000005104: E05C1000 80846872
	v_pk_add_f32 v[56:57], v[56:57], v[48:49]                  // 00000000510C: D3B24038 18026138
	v_pk_add_f32 v[58:59], v[58:59], v[50:51]                  // 000000005114: D3B2403A 1802653A
	v_pk_add_f32 v[60:61], v[60:61], v[52:53]                  // 00000000511C: D3B2403C 1802693C
	v_pk_add_f32 v[62:63], v[62:63], v[54:55]                  // 000000005124: D3B2403E 18026D3E
	s_waitcnt lgkmcnt(0)                                       // 00000000512C: BF8CC07F
	s_barrier                                                  // 000000005130: BF8A0000
	ds_read_b128 v[16:19], v131 offset:2560                    // 000000005134: D9FE0A00 10000083
	ds_read_b128 v[20:23], v131 offset:3584                    // 00000000513C: D9FE0E00 14000083
	ds_read_b128 v[24:27], v131 offset:4608                    // 000000005144: D9FE1200 18000083
	ds_read_b128 v[28:31], v131 offset:5632                    // 00000000514C: D9FE1600 1C000083
	buffer_load_dwordx4 a[108:111], v115, s[16:19], 0 offen    // 000000005154: E05C1000 80846C73
	s_waitcnt vmcnt(14)                                        // 00000000515C: BF8C0F7E
	s_waitcnt lgkmcnt(3)                                       // 000000005160: BF8CC37F
	v_mfma_f32_16x16x32_fp8_fp8 v[48:51], a[64:65], v[16:17], 0// 000000005164: D3F30030 0A022140
	s_lshl_b32 s68, s76, 2                                     // 00000000516C: 8E44824C
	v_mfma_f32_16x16x32_fp8_fp8 v[52:55], a[80:81], v[16:17], 0// 000000005170: D3F30034 0A022150
	s_cmp_lt_u32 s76, s77                                      // 000000005178: BF0A4D4C
	s_cselect_b32 s68, s68, 0                                  // 00000000517C: 85448044
	v_mfma_f32_16x16x32_fp8_fp8 v[48:51], a[66:67], v[18:19], v[48:51]// 000000005180: D3F30030 0CC22542
	buffer_load_dwordx4 a[112:115], v112, s[16:19], 0 offen offset:1024// 000000005188: E05C1400 80847070
	v_mfma_f32_16x16x32_fp8_fp8 v[52:55], a[82:83], v[18:19], v[52:55]// 000000005190: D3F30034 0CD22552
	s_addk_i32 s76, 0x1                                        // 000000005198: B74C0001
	s_waitcnt lgkmcnt(2)                                       // 00000000519C: BF8CC27F
	v_mfma_f32_16x16x32_fp8_fp8 v[48:51], a[68:69], v[20:21], v[48:51]// 0000000051A0: D3F30030 0CC22944
	v_mfma_f32_16x16x32_fp8_fp8 v[52:55], a[84:85], v[20:21], v[52:55]// 0000000051A8: D3F30034 0CD22954
	v_mfma_f32_16x16x32_fp8_fp8 v[48:51], a[70:71], v[22:23], v[48:51]// 0000000051B0: D3F30030 0CC22D46
	buffer_load_dwordx4 a[116:119], v113, s[16:19], 0 offen offset:1024// 0000000051B8: E05C1400 80847471
	v_mfma_f32_16x16x32_fp8_fp8 v[52:55], a[86:87], v[22:23], v[52:55]// 0000000051C0: D3F30034 0CD22D56
	s_waitcnt lgkmcnt(1)                                       // 0000000051C8: BF8CC17F
	v_mfma_f32_16x16x32_fp8_fp8 v[48:51], a[72:73], v[24:25], v[48:51]// 0000000051CC: D3F30030 0CC23148
	v_mfma_f32_16x16x32_fp8_fp8 v[52:55], a[88:89], v[24:25], v[52:55]// 0000000051D4: D3F30034 0CD23158
	v_mfma_f32_16x16x32_fp8_fp8 v[48:51], a[74:75], v[26:27], v[48:51]// 0000000051DC: D3F30030 0CC2354A
	buffer_load_dwordx4 a[120:123], v114, s[16:19], 0 offen offset:1024// 0000000051E4: E05C1400 80847872
	v_mfma_f32_16x16x32_fp8_fp8 v[52:55], a[90:91], v[26:27], v[52:55]// 0000000051EC: D3F30034 0CD2355A
	s_waitcnt lgkmcnt(0)                                       // 0000000051F4: BF8CC07F
	v_mfma_f32_16x16x32_fp8_fp8 v[48:51], a[76:77], v[28:29], v[48:51]// 0000000051F8: D3F30030 0CC2394C
	v_mfma_f32_16x16x32_fp8_fp8 v[52:55], a[92:93], v[28:29], v[52:55]// 000000005200: D3F30034 0CD2395C
	v_mfma_f32_16x16x32_fp8_fp8 v[48:51], a[78:79], v[30:31], v[48:51]// 000000005208: D3F30030 0CC23D4E
	buffer_load_dwordx4 a[124:127], v115, s[16:19], 0 offen offset:1024// 000000005210: E05C1400 80847C73
	v_mfma_f32_16x16x32_fp8_fp8 v[52:55], a[94:95], v[30:31], v[52:55]// 000000005218: D3F30034 0CD23D5E
	s_load_dword s59, s[42:43], s68                            // 000000005220: C0000ED5 00000044
	s_addk_i32 s64, 0x100                                      // 000000005228: B7400100
	s_cmp_lt_i32 s64, s63                                      // 00000000522C: BF043F40
	s_cbranch_scc0 label_13CE                                  // 000000005230: BF8408C1
	s_waitcnt vmcnt(10)                                        // 000000005234: BF8C0F7A
	v_mfma_f32_16x16x32_fp8_fp8 v[16:19], a[32:33], v[8:9], 0  // 000000005238: D3F30010 0A021120
	s_add_u32 s12, s86, s69                                    // 000000005240: 800C4556
	s_addc_u32 s13, s87, 0                                     // 000000005244: 820D8057
	v_mfma_f32_16x16x32_fp8_fp8 v[16:19], a[34:35], v[10:11], v[16:19]// 000000005248: D3F30010 0C421522
	s_add_u32 s16, s88, s70                                    // 000000005250: 80104658
	s_addc_u32 s17, s89, 0                                     // 000000005254: 82118059
	v_mfma_f32_16x16x32_fp8_fp8 v[16:19], a[36:37], v[12:13], v[16:19]// 000000005258: D3F30010 0C421924
	buffer_load_dwordx4 a[0:3], v110, s[12:15], 0 offen        // 000000005260: E05C1000 8083006E
	v_mfma_f32_16x16x32_fp8_fp8 v[16:19], a[38:39], v[14:15], v[16:19]// 000000005268: D3F30010 0C421D26
	s_add_u32 s20, s90, s71                                    // 000000005270: 8014475A
	s_addc_u32 s21, s91, 0                                     // 000000005274: 8215805B
	v_mfma_f32_16x16x32_fp8_fp8 v[20:23], a[40:41], v[8:9], 0  // 000000005278: D3F30014 0A021128
	s_add_u32 s24, s92, s71                                    // 000000005280: 8018475C
	s_addc_u32 s25, s93, 0                                     // 000000005284: 8219805D
	v_mfma_f32_16x16x32_fp8_fp8 v[20:23], a[42:43], v[10:11], v[20:23]// 000000005288: D3F30014 0C52152A
	s_add_u32 s69, s69, 0x1000                                 // 000000005290: 8045FF45 00001000
	s_add_u32 s70, s70, 0x8000                                 // 000000005298: 8046FF46 00008000
	v_mfma_f32_16x16x32_fp8_fp8 v[20:23], a[44:45], v[12:13], v[20:23]// 0000000052A0: D3F30014 0C52192C
	buffer_load_dwordx4 a[4:7], v111, s[12:15], 0 offen        // 0000000052A8: E05C1000 8083046F
	v_mfma_f32_16x16x32_fp8_fp8 v[20:23], a[46:47], v[14:15], v[20:23]// 0000000052B0: D3F30014 0C521D2E
	v_mfma_f32_16x16x32_fp8_fp8 v[24:27], a[48:49], v[8:9], 0  // 0000000052B8: D3F30018 0A021130
	v_mfma_f32_16x16x32_fp8_fp8 v[24:27], a[50:51], v[10:11], v[24:27]// 0000000052C0: D3F30018 0C621532
	v_mfma_f32_16x16x32_fp8_fp8 v[24:27], a[52:53], v[12:13], v[24:27]// 0000000052C8: D3F30018 0C621934
	buffer_load_dwordx4 a[8:11], v110, s[12:15], 0 offen offset:1024// 0000000052D0: E05C1400 8083086E
	v_mfma_f32_16x16x32_fp8_fp8 v[24:27], a[54:55], v[14:15], v[24:27]// 0000000052D8: D3F30018 0C621D36
	v_mfma_f32_16x16x32_fp8_fp8 v[28:31], a[56:57], v[8:9], 0  // 0000000052E0: D3F3001C 0A021138
	v_mfma_f32_16x16x32_fp8_fp8 v[28:31], a[58:59], v[10:11], v[28:31]// 0000000052E8: D3F3001C 0C72153A
	v_mfma_f32_16x16x32_fp8_fp8 v[28:31], a[60:61], v[12:13], v[28:31]// 0000000052F0: D3F3001C 0C72193C
	buffer_load_dwordx4 a[12:15], v111, s[12:15], 0 offen offset:1024// 0000000052F8: E05C1400 80830C6F
	v_mfma_f32_16x16x32_fp8_fp8 v[28:31], a[62:63], v[14:15], v[28:31]// 000000005300: D3F3001C 0C721D3E
	s_waitcnt vmcnt(12)                                        // 000000005308: BF8C0F7C
	v_pk_mul_f32 v[16:17], v[64:65], v[16:17]                  // 00000000530C: D3B14010 18022140
	v_pk_mul_f32 v[18:19], v[64:65], v[18:19]                  // 000000005314: D3B14012 18022540
	v_mul_f32_dpp v16, v67, v16 row_newbcast:0 row_mask:0xf bank_mask:0xf// 00000000531C: 0A2020FA FF015043
	v_mul_f32_dpp v17, v67, v17 row_newbcast:1 row_mask:0xf bank_mask:0xf// 000000005324: 0A2222FA FF015143
	v_mul_f32_dpp v18, v67, v18 row_newbcast:2 row_mask:0xf bank_mask:0xf// 00000000532C: 0A2424FA FF015243
	v_mul_f32_dpp v19, v67, v19 row_newbcast:3 row_mask:0xf bank_mask:0xf// 000000005334: 0A2626FA FF015343
	v_pk_mul_f32 v[20:21], v[64:65], v[20:21]                  // 00000000533C: D3B14014 18022940
	v_pk_mul_f32 v[22:23], v[64:65], v[22:23]                  // 000000005344: D3B14016 18022D40
	v_mul_f32_dpp v20, v67, v20 row_newbcast:4 row_mask:0xf bank_mask:0xf// 00000000534C: 0A2828FA FF015443
	v_mul_f32_dpp v21, v67, v21 row_newbcast:5 row_mask:0xf bank_mask:0xf// 000000005354: 0A2A2AFA FF015543
	v_mul_f32_dpp v22, v67, v22 row_newbcast:6 row_mask:0xf bank_mask:0xf// 00000000535C: 0A2C2CFA FF015643
	v_mul_f32_dpp v23, v67, v23 row_newbcast:7 row_mask:0xf bank_mask:0xf// 000000005364: 0A2E2EFA FF015743
	v_pk_mul_f32 v[24:25], v[64:65], v[24:25]                  // 00000000536C: D3B14018 18023140
	v_pk_mul_f32 v[26:27], v[64:65], v[26:27]                  // 000000005374: D3B1401A 18023540
	v_mul_f32_dpp v24, v67, v24 row_newbcast:8 row_mask:0xf bank_mask:0xf// 00000000537C: 0A3030FA FF015843
	v_mul_f32_dpp v25, v67, v25 row_newbcast:9 row_mask:0xf bank_mask:0xf// 000000005384: 0A3232FA FF015943
	v_mul_f32_dpp v26, v67, v26 row_newbcast:10 row_mask:0xf bank_mask:0xf// 00000000538C: 0A3434FA FF015A43
	v_mul_f32_dpp v27, v67, v27 row_newbcast:11 row_mask:0xf bank_mask:0xf// 000000005394: 0A3636FA FF015B43
	v_pk_mul_f32 v[28:29], v[64:65], v[28:29]                  // 00000000539C: D3B1401C 18023940
	v_pk_mul_f32 v[30:31], v[64:65], v[30:31]                  // 0000000053A4: D3B1401E 18023D40
	v_mul_f32_dpp v28, v67, v28 row_newbcast:12 row_mask:0xf bank_mask:0xf// 0000000053AC: 0A3838FA FF015C43
	v_mul_f32_dpp v29, v67, v29 row_newbcast:13 row_mask:0xf bank_mask:0xf// 0000000053B4: 0A3A3AFA FF015D43
	v_mul_f32_dpp v30, v67, v30 row_newbcast:14 row_mask:0xf bank_mask:0xf// 0000000053BC: 0A3C3CFA FF015E43
	v_mul_f32_dpp v31, v67, v31 row_newbcast:15 row_mask:0xf bank_mask:0xf// 0000000053C4: 0A3E3EFA FF015F43
	buffer_load_dwordx4 a[16:19], v110, s[12:15], 0 offen offset:2048// 0000000053CC: E05C1800 8083106E
	v_mov_b32_e32 v92, v16                                     // 0000000053D4: 7EB80310
	v_max3_f32 v92, v16, v17, v92                              // 0000000053D8: D1D3005C 05722310
	v_max3_f32 v92, v18, v19, v92                              // 0000000053E0: D1D3005C 05722712
	v_max3_f32 v92, v20, v21, v92                              // 0000000053E8: D1D3005C 05722B14
	v_max3_f32 v92, v22, v23, v92                              // 0000000053F0: D1D3005C 05722F16
	v_max3_f32 v92, v24, v25, v92                              // 0000000053F8: D1D3005C 05723318
	v_max3_f32 v92, v26, v27, v92                              // 000000005400: D1D3005C 0572371A
	v_max3_f32 v92, v28, v29, v92                              // 000000005408: D1D3005C 05723B1C
	v_max3_f32 v92, v30, v31, v92                              // 000000005410: D1D3005C 05723F1E
	ds_write_b32 v128, v92                                     // 000000005418: D81A0000 00005C80
	v_pk_mul_f32 v[56:57], v[94:95], v[56:57]                  // 000000005420: D3B14038 1802715E
	v_pk_mul_f32 v[58:59], v[94:95], v[58:59]                  // 000000005428: D3B1403A 1802755E
	v_pk_mul_f32 v[60:61], v[94:95], v[60:61]                  // 000000005430: D3B1403C 1802795E
	v_pk_mul_f32 v[62:63], v[94:95], v[62:63]                  // 000000005438: D3B1403E 18027D5E
	buffer_load_dwordx4 a[20:23], v111, s[12:15], 0 offen offset:2048// 000000005440: E05C1800 8083146F
	s_waitcnt lgkmcnt(0)                                       // 000000005448: BF8CC07F
	s_barrier                                                  // 00000000544C: BF8A0000
	v_pk_mul_f32 v[48:49], v[70:71], v[48:49]                  // 000000005450: D3B14030 18026146
	v_pk_mul_f32 v[50:51], v[70:71], v[50:51]                  // 000000005458: D3B14032 18026546
	v_pk_mul_f32 v[52:53], v[70:71], v[52:53]                  // 000000005460: D3B14034 18026946
	v_pk_mul_f32 v[54:55], v[70:71], v[54:55]                  // 000000005468: D3B14036 18026D46
	buffer_load_dwordx4 a[24:27], v110, s[12:15], 0 offen offset:3072// 000000005470: E05C1C00 8083186E
	ds_read_b32 v76, v129                                      // 000000005478: D86C0000 4C000081
	ds_read_b32 v77, v129 offset:64                            // 000000005480: D86C0040 4D000081
	ds_read_b32 v78, v129 offset:128                           // 000000005488: D86C0080 4E000081
	ds_read_b32 v79, v129 offset:192                           // 000000005490: D86C00C0 4F000081
	ds_read_b32 v80, v129 offset:256                           // 000000005498: D86C0100 50000081
	ds_read_b32 v81, v129 offset:320                           // 0000000054A0: D86C0140 51000081
	ds_read_b32 v82, v129 offset:384                           // 0000000054A8: D86C0180 52000081
	ds_read_b32 v83, v129 offset:448                           // 0000000054B0: D86C01C0 53000081
	ds_read_b32 v84, v129 offset:512                           // 0000000054B8: D86C0200 54000081
	ds_read_b32 v85, v129 offset:576                           // 0000000054C0: D86C0240 55000081
	ds_read_b32 v86, v129 offset:640                           // 0000000054C8: D86C0280 56000081
	ds_read_b32 v87, v129 offset:704                           // 0000000054D0: D86C02C0 57000081
	ds_read_b32 v88, v129 offset:768                           // 0000000054D8: D86C0300 58000081
	ds_read_b32 v89, v129 offset:832                           // 0000000054E0: D86C0340 59000081
	ds_read_b32 v90, v129 offset:896                           // 0000000054E8: D86C0380 5A000081
	ds_read_b32 v91, v129 offset:960                           // 0000000054F0: D86C03C0 5B000081
	buffer_load_dwordx4 a[28:31], v111, s[12:15], 0 offen offset:3072// 0000000054F8: E05C1C00 80831C6F
	s_waitcnt lgkmcnt(0)                                       // 000000005500: BF8CC07F
	v_max3_f32 v92, v76, v77, v92                              // 000000005504: D1D3005C 05729B4C
	v_max3_f32 v92, v78, v79, v92                              // 00000000550C: D1D3005C 05729F4E
	v_max3_f32 v92, v80, v81, v92                              // 000000005514: D1D3005C 0572A350
	v_max3_f32 v92, v82, v83, v92                              // 00000000551C: D1D3005C 0572A752
	v_max3_f32 v92, v84, v85, v92                              // 000000005524: D1D3005C 0572AB54
	v_max3_f32 v92, v86, v87, v92                              // 00000000552C: D1D3005C 0572AF56
	v_max3_f32 v92, v88, v89, v92                              // 000000005534: D1D3005C 0572B358
	v_max3_f32 v92, v90, v91, v92                              // 00000000553C: D1D3005C 0572B75A
	v_max_f32_e32 v97, v92, v96                                // 000000005544: 16C2C15C
	v_mul_f32_e64 v72, -s46, v97                               // 000000005548: D1050048 2002C22E
	v_mov_b32_e32 v73, v72                                     // 000000005550: 7E920348
	v_pk_fma_f32 v[16:17], v[16:17], s[46:47], v[72:73]        // 000000005554: D3B04010 1D205D10
	v_pk_fma_f32 v[18:19], v[18:19], s[46:47], v[72:73]        // 00000000555C: D3B04012 1D205D12
	v_exp_f32_e32 v16, v16                                     // 000000005564: 7E204110
	v_exp_f32_e32 v17, v17                                     // 000000005568: 7E224111
	v_exp_f32_e32 v18, v18                                     // 00000000556C: 7E244112
	v_exp_f32_e32 v19, v19                                     // 000000005570: 7E264113
	v_pk_fma_f32 v[20:21], v[20:21], s[46:47], v[72:73]        // 000000005574: D3B04014 1D205D14
	v_pk_fma_f32 v[22:23], v[22:23], s[46:47], v[72:73]        // 00000000557C: D3B04016 1D205D16
	v_exp_f32_e32 v20, v20                                     // 000000005584: 7E284114
	v_exp_f32_e32 v21, v21                                     // 000000005588: 7E2A4115
	v_exp_f32_e32 v22, v22                                     // 00000000558C: 7E2C4116
	v_exp_f32_e32 v23, v23                                     // 000000005590: 7E2E4117
	v_pk_fma_f32 v[24:25], v[24:25], s[46:47], v[72:73]        // 000000005594: D3B04018 1D205D18
	v_pk_fma_f32 v[26:27], v[26:27], s[46:47], v[72:73]        // 00000000559C: D3B0401A 1D205D1A
	v_exp_f32_e32 v24, v24                                     // 0000000055A4: 7E304118
	v_exp_f32_e32 v25, v25                                     // 0000000055A8: 7E324119
	v_exp_f32_e32 v26, v26                                     // 0000000055AC: 7E34411A
	v_exp_f32_e32 v27, v27                                     // 0000000055B0: 7E36411B
	v_pk_fma_f32 v[28:29], v[28:29], s[46:47], v[72:73]        // 0000000055B4: D3B0401C 1D205D1C
	v_pk_fma_f32 v[30:31], v[30:31], s[46:47], v[72:73]        // 0000000055BC: D3B0401E 1D205D1E
	v_exp_f32_e32 v28, v28                                     // 0000000055C4: 7E38411C
	v_exp_f32_e32 v29, v29                                     // 0000000055C8: 7E3A411D
	v_exp_f32_e32 v30, v30                                     // 0000000055CC: 7E3C411E
	v_exp_f32_e32 v31, v31                                     // 0000000055D0: 7E3E411F
	v_mul_f32_dpp v32, v69, v16 row_newbcast:0 row_mask:0xf bank_mask:0xf// 0000000055D4: 0A4020FA FF015045
	v_mul_f32_dpp v33, v69, v17 row_newbcast:1 row_mask:0xf bank_mask:0xf// 0000000055DC: 0A4222FA FF015145
	v_mul_f32_dpp v34, v69, v18 row_newbcast:2 row_mask:0xf bank_mask:0xf// 0000000055E4: 0A4424FA FF015245
	v_mul_f32_dpp v35, v69, v19 row_newbcast:3 row_mask:0xf bank_mask:0xf// 0000000055EC: 0A4626FA FF015345
	v_mul_f32_dpp v36, v69, v20 row_newbcast:4 row_mask:0xf bank_mask:0xf// 0000000055F4: 0A4828FA FF015445
	v_mul_f32_dpp v37, v69, v21 row_newbcast:5 row_mask:0xf bank_mask:0xf// 0000000055FC: 0A4A2AFA FF015545
	v_mul_f32_dpp v38, v69, v22 row_newbcast:6 row_mask:0xf bank_mask:0xf// 000000005604: 0A4C2CFA FF015645
	v_mul_f32_dpp v39, v69, v23 row_newbcast:7 row_mask:0xf bank_mask:0xf// 00000000560C: 0A4E2EFA FF015745
	v_mul_f32_dpp v40, v69, v24 row_newbcast:8 row_mask:0xf bank_mask:0xf// 000000005614: 0A5030FA FF015845
	v_mul_f32_dpp v41, v69, v25 row_newbcast:9 row_mask:0xf bank_mask:0xf// 00000000561C: 0A5232FA FF015945
	v_mul_f32_dpp v42, v69, v26 row_newbcast:10 row_mask:0xf bank_mask:0xf// 000000005624: 0A5434FA FF015A45
	v_mul_f32_dpp v43, v69, v27 row_newbcast:11 row_mask:0xf bank_mask:0xf// 00000000562C: 0A5636FA FF015B45
	v_mul_f32_dpp v44, v69, v28 row_newbcast:12 row_mask:0xf bank_mask:0xf// 000000005634: 0A5838FA FF015C45
	v_mul_f32_dpp v45, v69, v29 row_newbcast:13 row_mask:0xf bank_mask:0xf// 00000000563C: 0A5A3AFA FF015D45
	v_mul_f32_dpp v46, v69, v30 row_newbcast:14 row_mask:0xf bank_mask:0xf// 000000005644: 0A5C3CFA FF015E45
	v_mul_f32_dpp v47, v69, v31 row_newbcast:15 row_mask:0xf bank_mask:0xf// 00000000564C: 0A5E3EFA FF015F45
	buffer_load_dword v66, v116, s[20:23], 0 offen             // 000000005654: E0501000 80054274
	v_sub_f32_e32 v94, v96, v97                                // 00000000565C: 04BCC360
	v_cmp_eq_u32_e64 s[98:99], v107, v96                       // 000000005660: D0CA0062 0002C16B
	s_nop 0                                                    // 000000005668: BF800000
	v_cndmask_b32_e64 v94, v94, 0, s[98:99]                    // 00000000566C: D100005E 0189015E
	v_mov_b32_e32 v96, v97                                     // 000000005674: 7EC00361
	v_mul_f32_e32 v94, s46, v94                                // 000000005678: 0ABCBC2E
	v_exp_f32_e32 v94, v94                                     // 00000000567C: 7EBC415E
	s_nop 0                                                    // 000000005680: BF800000
	v_mov_b32_e32 v95, v94                                     // 000000005684: 7EBE035E
	buffer_load_dword v68, v117, s[24:27], 0 offen             // 000000005688: E0501000 80064475
	s_waitcnt lgkmcnt(0)                                       // 000000005690: BF8CC07F
	s_barrier                                                  // 000000005694: BF8A0000
	v_mul_f32_e32 v98, v94, v98                                // 000000005698: 0AC4C55E
	v_add_f32_e32 v98, v16, v98                                // 00000000569C: 02C4C510
	v_add_f32_e32 v98, v17, v98                                // 0000000056A0: 02C4C511
	v_add_f32_e32 v98, v18, v98                                // 0000000056A4: 02C4C512
	v_add_f32_e32 v98, v19, v98                                // 0000000056A8: 02C4C513
	v_add_f32_e32 v98, v20, v98                                // 0000000056AC: 02C4C514
	v_add_f32_e32 v98, v21, v98                                // 0000000056B0: 02C4C515
	v_add_f32_e32 v98, v22, v98                                // 0000000056B4: 02C4C516
	v_add_f32_e32 v98, v23, v98                                // 0000000056B8: 02C4C517
	v_add_f32_e32 v98, v24, v98                                // 0000000056BC: 02C4C518
	v_add_f32_e32 v98, v25, v98                                // 0000000056C0: 02C4C519
	v_add_f32_e32 v98, v26, v98                                // 0000000056C4: 02C4C51A
	v_add_f32_e32 v98, v27, v98                                // 0000000056C8: 02C4C51B
	v_add_f32_e32 v98, v28, v98                                // 0000000056CC: 02C4C51C
	v_add_f32_e32 v98, v29, v98                                // 0000000056D0: 02C4C51D
	v_add_f32_e32 v98, v30, v98                                // 0000000056D4: 02C4C51E
	v_add_f32_e32 v98, v31, v98                                // 0000000056D8: 02C4C51F
	buffer_load_dwordx4 a[68:71], v113, s[16:19], 0 offen      // 0000000056DC: E05C1000 80844471
	buffer_load_dwordx4 a[64:67], v112, s[16:19], 0 offen      // 0000000056E4: E05C1000 80844070
	s_waitcnt lgkmcnt(0)                                       // 0000000056EC: BF8CC07F
	v_sub_f32_e32 v92, v92, v96                                // 0000000056F0: 04B8C15C
	v_mul_f32_e32 v92, s46, v92                                // 0000000056F4: 0AB8B82E
	v_exp_f32_e32 v92, v92                                     // 0000000056F8: 7EB8415C
	s_nop 0                                                    // 0000000056FC: BF800000
	v_mul_f32_e32 v92, v69, v92                                // 000000005700: 0AB8B945
	v_add_f32_e32 v92, 0x3089705f, v92                         // 000000005704: 02B8B8FF 3089705F
	v_rcp_f32_e32 v92, v92                                     // 00000000570C: 7EB8455C
	s_nop 0                                                    // 000000005710: BF800000
	v_mul_f32_e32 v92, 0x43700000, v92                         // 000000005714: 0AB8B8FF 43700000
	v_mov_b32_e32 v93, v92                                     // 00000000571C: 7EBA035C
	v_pk_mul_f32 v[16:17], v[92:93], v[32:33]                  // 000000005720: D3B14010 1802415C
	v_pk_mul_f32 v[18:19], v[92:93], v[34:35]                  // 000000005728: D3B14012 1802455C
	v_pk_mul_f32 v[20:21], v[92:93], v[36:37]                  // 000000005730: D3B14014 1802495C
	v_pk_mul_f32 v[22:23], v[92:93], v[38:39]                  // 000000005738: D3B14016 18024D5C
	v_pk_mul_f32 v[24:25], v[92:93], v[40:41]                  // 000000005740: D3B14018 1802515C
	v_pk_mul_f32 v[26:27], v[92:93], v[42:43]                  // 000000005748: D3B1401A 1802555C
	v_pk_mul_f32 v[28:29], v[92:93], v[44:45]                  // 000000005750: D3B1401C 1802595C
	v_pk_mul_f32 v[30:31], v[92:93], v[46:47]                  // 000000005758: D3B1401E 18025D5C
	v_cvt_pk_fp8_f32 v16, v16, v17                             // 000000005760: D2A20010 00022310
	v_cvt_pk_fp8_f32 v16, v18, v19 op_sel:[0,0,1]              // 000000005768: D2A24010 00022712
	v_cvt_pk_fp8_f32 v17, v20, v21                             // 000000005770: D2A20011 00022B14
	v_cvt_pk_fp8_f32 v17, v22, v23 op_sel:[0,0,1]              // 000000005778: D2A24011 00022F16
	v_cvt_pk_fp8_f32 v18, v24, v25                             // 000000005780: D2A20012 00023318
	v_cvt_pk_fp8_f32 v18, v26, v27 op_sel:[0,0,1]              // 000000005788: D2A24012 0002371A
	v_cvt_pk_fp8_f32 v19, v28, v29                             // 000000005790: D2A20013 00023B1C
	v_cvt_pk_fp8_f32 v19, v30, v31 op_sel:[0,0,1]              // 000000005798: D2A24013 00023F1E
	ds_write_b32 v130, v16 offset:2560                         // 0000000057A0: D81A0A00 00001082
	ds_write_b32 v130, v17 offset:3584                         // 0000000057A8: D81A0E00 00001182
	ds_write_b32 v130, v18 offset:4608                         // 0000000057B0: D81A1200 00001282
	ds_write_b32 v130, v19 offset:5632                         // 0000000057B8: D81A1600 00001382
	v_rcp_f32_e32 v70, v92                                     // 0000000057C0: 7E8C455C
	s_nop 0                                                    // 0000000057C4: BF800000
	v_mov_b32_e32 v71, v70                                     // 0000000057C8: 7E8E0346
	buffer_load_dwordx4 a[72:75], v114, s[16:19], 0 offen      // 0000000057CC: E05C1000 80844872
	v_pk_add_f32 v[56:57], v[56:57], v[48:49]                  // 0000000057D4: D3B24038 18026138
	v_pk_add_f32 v[58:59], v[58:59], v[50:51]                  // 0000000057DC: D3B2403A 1802653A
	v_pk_add_f32 v[60:61], v[60:61], v[52:53]                  // 0000000057E4: D3B2403C 1802693C
	v_pk_add_f32 v[62:63], v[62:63], v[54:55]                  // 0000000057EC: D3B2403E 18026D3E
	s_waitcnt lgkmcnt(0)                                       // 0000000057F4: BF8CC07F
	s_barrier                                                  // 0000000057F8: BF8A0000
	ds_read_b128 v[16:19], v131 offset:2560                    // 0000000057FC: D9FE0A00 10000083
	ds_read_b128 v[20:23], v131 offset:3584                    // 000000005804: D9FE0E00 14000083
	ds_read_b128 v[24:27], v131 offset:4608                    // 00000000580C: D9FE1200 18000083
	ds_read_b128 v[28:31], v131 offset:5632                    // 000000005814: D9FE1600 1C000083
	buffer_load_dwordx4 a[76:79], v115, s[16:19], 0 offen      // 00000000581C: E05C1000 80844C73
	s_waitcnt vmcnt(14)                                        // 000000005824: BF8C0F7E
	s_waitcnt lgkmcnt(3)                                       // 000000005828: BF8CC37F
	v_mfma_f32_16x16x32_fp8_fp8 v[48:51], a[96:97], v[16:17], 0// 00000000582C: D3F30030 0A022160
	v_mfma_f32_16x16x32_fp8_fp8 v[52:55], a[112:113], v[16:17], 0// 000000005834: D3F30034 0A022170
	v_mfma_f32_16x16x32_fp8_fp8 v[48:51], a[98:99], v[18:19], v[48:51]// 00000000583C: D3F30030 0CC22562
	buffer_load_dwordx4 a[80:83], v112, s[16:19], 0 offen offset:1024// 000000005844: E05C1400 80845070
	v_mfma_f32_16x16x32_fp8_fp8 v[52:55], a[114:115], v[18:19], v[52:55]// 00000000584C: D3F30034 0CD22572
	s_waitcnt lgkmcnt(2)                                       // 000000005854: BF8CC27F
	v_mfma_f32_16x16x32_fp8_fp8 v[48:51], a[100:101], v[20:21], v[48:51]// 000000005858: D3F30030 0CC22964
	v_mfma_f32_16x16x32_fp8_fp8 v[52:55], a[116:117], v[20:21], v[52:55]// 000000005860: D3F30034 0CD22974
	v_mfma_f32_16x16x32_fp8_fp8 v[48:51], a[102:103], v[22:23], v[48:51]// 000000005868: D3F30030 0CC22D66
	buffer_load_dwordx4 a[84:87], v113, s[16:19], 0 offen offset:1024// 000000005870: E05C1400 80845471
	v_mfma_f32_16x16x32_fp8_fp8 v[52:55], a[118:119], v[22:23], v[52:55]// 000000005878: D3F30034 0CD22D76
	s_waitcnt lgkmcnt(1)                                       // 000000005880: BF8CC17F
	v_mfma_f32_16x16x32_fp8_fp8 v[48:51], a[104:105], v[24:25], v[48:51]// 000000005884: D3F30030 0CC23168
	v_mfma_f32_16x16x32_fp8_fp8 v[52:55], a[120:121], v[24:25], v[52:55]// 00000000588C: D3F30034 0CD23178
	v_mfma_f32_16x16x32_fp8_fp8 v[48:51], a[106:107], v[26:27], v[48:51]// 000000005894: D3F30030 0CC2356A
	buffer_load_dwordx4 a[88:91], v114, s[16:19], 0 offen offset:1024// 00000000589C: E05C1400 80845872
	v_mfma_f32_16x16x32_fp8_fp8 v[52:55], a[122:123], v[26:27], v[52:55]// 0000000058A4: D3F30034 0CD2357A
	s_waitcnt lgkmcnt(0)                                       // 0000000058AC: BF8CC07F
	v_mfma_f32_16x16x32_fp8_fp8 v[48:51], a[108:109], v[28:29], v[48:51]// 0000000058B0: D3F30030 0CC2396C
	v_mfma_f32_16x16x32_fp8_fp8 v[52:55], a[124:125], v[28:29], v[52:55]// 0000000058B8: D3F30034 0CD2397C
	v_mfma_f32_16x16x32_fp8_fp8 v[48:51], a[110:111], v[30:31], v[48:51]// 0000000058C0: D3F30030 0CC23D6E
	buffer_load_dwordx4 a[92:95], v115, s[16:19], 0 offen offset:1024// 0000000058C8: E05C1400 80845C73
	v_mfma_f32_16x16x32_fp8_fp8 v[52:55], a[126:127], v[30:31], v[52:55]// 0000000058D0: D3F30034 0CD23D7E
	s_addk_i32 s64, 0x100                                      // 0000000058D8: B7400100
	s_cmp_lt_i32 s64, s63                                      // 0000000058DC: BF043F40
	s_cbranch_scc0 label_1783                                  // 0000000058E0: BF840ACA
	s_waitcnt vmcnt(10)                                        // 0000000058E4: BF8C0F7A
	v_mfma_f32_16x16x32_fp8_fp8 v[16:19], a[0:1], v[8:9], 0    // 0000000058E8: D3F30010 0A021100
	s_add_u32 s12, s86, s69                                    // 0000000058F0: 800C4556
	s_addc_u32 s13, s87, 0                                     // 0000000058F4: 820D8057
	v_mfma_f32_16x16x32_fp8_fp8 v[16:19], a[2:3], v[10:11], v[16:19]// 0000000058F8: D3F30010 0C421502
	s_add_u32 s16, s88, s70                                    // 000000005900: 80104658
	s_addc_u32 s17, s89, 0                                     // 000000005904: 82118059
	v_mfma_f32_16x16x32_fp8_fp8 v[16:19], a[4:5], v[12:13], v[16:19]// 000000005908: D3F30010 0C421904
	buffer_load_dwordx4 a[32:35], v110, s[12:15], 0 offen      // 000000005910: E05C1000 8083206E
	v_mfma_f32_16x16x32_fp8_fp8 v[16:19], a[6:7], v[14:15], v[16:19]// 000000005918: D3F30010 0C421D06
	s_add_u32 s20, s90, s71                                    // 000000005920: 8014475A
	s_addc_u32 s21, s91, 0                                     // 000000005924: 8215805B
	v_mfma_f32_16x16x32_fp8_fp8 v[20:23], a[8:9], v[8:9], 0    // 000000005928: D3F30014 0A021108
	s_add_u32 s24, s92, s71                                    // 000000005930: 8018475C
	s_addc_u32 s25, s93, 0                                     // 000000005934: 8219805D
	v_mfma_f32_16x16x32_fp8_fp8 v[20:23], a[10:11], v[10:11], v[20:23]// 000000005938: D3F30014 0C52150A
	s_mul_i32 s69, s59, s50                                    // 000000005940: 9245323B
	s_mul_i32 s71, s59, s66                                    // 000000005944: 9247423B
	v_mfma_f32_16x16x32_fp8_fp8 v[20:23], a[12:13], v[12:13], v[20:23]// 000000005948: D3F30014 0C52190C
	buffer_load_dwordx4 a[36:39], v111, s[12:15], 0 offen      // 000000005950: E05C1000 8083246F
	v_mfma_f32_16x16x32_fp8_fp8 v[20:23], a[14:15], v[14:15], v[20:23]// 000000005958: D3F30014 0C521D0E
	s_mul_i32 s54, s78, s51                                    // 000000005960: 9236334E
	s_add_u32 s69, s69, s54                                    // 000000005964: 80453645
	v_mfma_f32_16x16x32_fp8_fp8 v[24:27], a[16:17], v[8:9], 0  // 000000005968: D3F30018 0A021110
	s_mov_b32 s70, s69                                         // 000000005970: BEC60045
	v_mfma_f32_16x16x32_fp8_fp8 v[24:27], a[18:19], v[10:11], v[24:27]// 000000005974: D3F30018 0C621512
	s_mul_i32 s54, s78, 4                                      // 00000000597C: 9236844E
	s_add_u32 s71, s71, s54                                    // 000000005980: 80473647
	v_mfma_f32_16x16x32_fp8_fp8 v[24:27], a[20:21], v[12:13], v[24:27]// 000000005984: D3F30018 0C621914
	buffer_load_dwordx4 a[40:43], v110, s[12:15], 0 offen offset:1024// 00000000598C: E05C1400 8083286E
	v_mfma_f32_16x16x32_fp8_fp8 v[24:27], a[22:23], v[14:15], v[24:27]// 000000005994: D3F30018 0C621D16
	v_mfma_f32_16x16x32_fp8_fp8 v[28:31], a[24:25], v[8:9], 0  // 00000000599C: D3F3001C 0A021118
	v_mfma_f32_16x16x32_fp8_fp8 v[28:31], a[26:27], v[10:11], v[28:31]// 0000000059A4: D3F3001C 0C72151A
	v_mfma_f32_16x16x32_fp8_fp8 v[28:31], a[28:29], v[12:13], v[28:31]// 0000000059AC: D3F3001C 0C72191C
	buffer_load_dwordx4 a[44:47], v111, s[12:15], 0 offen offset:1024// 0000000059B4: E05C1400 80832C6F
	v_mfma_f32_16x16x32_fp8_fp8 v[28:31], a[30:31], v[14:15], v[28:31]// 0000000059BC: D3F3001C 0C721D1E
	s_waitcnt vmcnt(12)                                        // 0000000059C4: BF8C0F7C
	v_pk_mul_f32 v[16:17], v[64:65], v[16:17]                  // 0000000059C8: D3B14010 18022140
	v_pk_mul_f32 v[18:19], v[64:65], v[18:19]                  // 0000000059D0: D3B14012 18022540
	v_mul_f32_dpp v16, v66, v16 row_newbcast:0 row_mask:0xf bank_mask:0xf// 0000000059D8: 0A2020FA FF015042
	v_mul_f32_dpp v17, v66, v17 row_newbcast:1 row_mask:0xf bank_mask:0xf// 0000000059E0: 0A2222FA FF015142
	v_mul_f32_dpp v18, v66, v18 row_newbcast:2 row_mask:0xf bank_mask:0xf// 0000000059E8: 0A2424FA FF015242
	v_mul_f32_dpp v19, v66, v19 row_newbcast:3 row_mask:0xf bank_mask:0xf// 0000000059F0: 0A2626FA FF015342
	v_pk_mul_f32 v[20:21], v[64:65], v[20:21]                  // 0000000059F8: D3B14014 18022940
	v_pk_mul_f32 v[22:23], v[64:65], v[22:23]                  // 000000005A00: D3B14016 18022D40
	v_mul_f32_dpp v20, v66, v20 row_newbcast:4 row_mask:0xf bank_mask:0xf// 000000005A08: 0A2828FA FF015442
	v_mul_f32_dpp v21, v66, v21 row_newbcast:5 row_mask:0xf bank_mask:0xf// 000000005A10: 0A2A2AFA FF015542
	v_mul_f32_dpp v22, v66, v22 row_newbcast:6 row_mask:0xf bank_mask:0xf// 000000005A18: 0A2C2CFA FF015642
	v_mul_f32_dpp v23, v66, v23 row_newbcast:7 row_mask:0xf bank_mask:0xf// 000000005A20: 0A2E2EFA FF015742
	v_pk_mul_f32 v[24:25], v[64:65], v[24:25]                  // 000000005A28: D3B14018 18023140
	v_pk_mul_f32 v[26:27], v[64:65], v[26:27]                  // 000000005A30: D3B1401A 18023540
	v_mul_f32_dpp v24, v66, v24 row_newbcast:8 row_mask:0xf bank_mask:0xf// 000000005A38: 0A3030FA FF015842
	v_mul_f32_dpp v25, v66, v25 row_newbcast:9 row_mask:0xf bank_mask:0xf// 000000005A40: 0A3232FA FF015942
	v_mul_f32_dpp v26, v66, v26 row_newbcast:10 row_mask:0xf bank_mask:0xf// 000000005A48: 0A3434FA FF015A42
	v_mul_f32_dpp v27, v66, v27 row_newbcast:11 row_mask:0xf bank_mask:0xf// 000000005A50: 0A3636FA FF015B42
	v_pk_mul_f32 v[28:29], v[64:65], v[28:29]                  // 000000005A58: D3B1401C 18023940
	v_pk_mul_f32 v[30:31], v[64:65], v[30:31]                  // 000000005A60: D3B1401E 18023D40
	v_mul_f32_dpp v28, v66, v28 row_newbcast:12 row_mask:0xf bank_mask:0xf// 000000005A68: 0A3838FA FF015C42
	v_mul_f32_dpp v29, v66, v29 row_newbcast:13 row_mask:0xf bank_mask:0xf// 000000005A70: 0A3A3AFA FF015D42
	v_mul_f32_dpp v30, v66, v30 row_newbcast:14 row_mask:0xf bank_mask:0xf// 000000005A78: 0A3C3CFA FF015E42
	v_mul_f32_dpp v31, v66, v31 row_newbcast:15 row_mask:0xf bank_mask:0xf// 000000005A80: 0A3E3EFA FF015F42
	buffer_load_dwordx4 a[48:51], v110, s[12:15], 0 offen offset:2048// 000000005A88: E05C1800 8083306E
	v_mov_b32_e32 v92, v16                                     // 000000005A90: 7EB80310
	v_max3_f32 v92, v16, v17, v92                              // 000000005A94: D1D3005C 05722310
	v_max3_f32 v92, v18, v19, v92                              // 000000005A9C: D1D3005C 05722712
	v_max3_f32 v92, v20, v21, v92                              // 000000005AA4: D1D3005C 05722B14
	v_max3_f32 v92, v22, v23, v92                              // 000000005AAC: D1D3005C 05722F16
	v_max3_f32 v92, v24, v25, v92                              // 000000005AB4: D1D3005C 05723318
	v_max3_f32 v92, v26, v27, v92                              // 000000005ABC: D1D3005C 0572371A
	v_max3_f32 v92, v28, v29, v92                              // 000000005AC4: D1D3005C 05723B1C
	v_max3_f32 v92, v30, v31, v92                              // 000000005ACC: D1D3005C 05723F1E
	ds_write_b32 v128, v92                                     // 000000005AD4: D81A0000 00005C80
	v_pk_mul_f32 v[56:57], v[94:95], v[56:57]                  // 000000005ADC: D3B14038 1802715E
	v_pk_mul_f32 v[58:59], v[94:95], v[58:59]                  // 000000005AE4: D3B1403A 1802755E
	v_pk_mul_f32 v[60:61], v[94:95], v[60:61]                  // 000000005AEC: D3B1403C 1802795E
	v_pk_mul_f32 v[62:63], v[94:95], v[62:63]                  // 000000005AF4: D3B1403E 18027D5E
	buffer_load_dwordx4 a[52:55], v111, s[12:15], 0 offen offset:2048// 000000005AFC: E05C1800 8083346F
	s_waitcnt lgkmcnt(0)                                       // 000000005B04: BF8CC07F
	s_barrier                                                  // 000000005B08: BF8A0000
	v_pk_mul_f32 v[48:49], v[70:71], v[48:49]                  // 000000005B0C: D3B14030 18026146
	v_pk_mul_f32 v[50:51], v[70:71], v[50:51]                  // 000000005B14: D3B14032 18026546
	v_pk_mul_f32 v[52:53], v[70:71], v[52:53]                  // 000000005B1C: D3B14034 18026946
	v_pk_mul_f32 v[54:55], v[70:71], v[54:55]                  // 000000005B24: D3B14036 18026D46
	buffer_load_dwordx4 a[56:59], v110, s[12:15], 0 offen offset:3072// 000000005B2C: E05C1C00 8083386E
	ds_read_b32 v76, v129                                      // 000000005B34: D86C0000 4C000081
	ds_read_b32 v77, v129 offset:64                            // 000000005B3C: D86C0040 4D000081
	ds_read_b32 v78, v129 offset:128                           // 000000005B44: D86C0080 4E000081
	ds_read_b32 v79, v129 offset:192                           // 000000005B4C: D86C00C0 4F000081
	ds_read_b32 v80, v129 offset:256                           // 000000005B54: D86C0100 50000081
	ds_read_b32 v81, v129 offset:320                           // 000000005B5C: D86C0140 51000081
	ds_read_b32 v82, v129 offset:384                           // 000000005B64: D86C0180 52000081
	ds_read_b32 v83, v129 offset:448                           // 000000005B6C: D86C01C0 53000081
	ds_read_b32 v84, v129 offset:512                           // 000000005B74: D86C0200 54000081
	ds_read_b32 v85, v129 offset:576                           // 000000005B7C: D86C0240 55000081
	ds_read_b32 v86, v129 offset:640                           // 000000005B84: D86C0280 56000081
	ds_read_b32 v87, v129 offset:704                           // 000000005B8C: D86C02C0 57000081
	ds_read_b32 v88, v129 offset:768                           // 000000005B94: D86C0300 58000081
	ds_read_b32 v89, v129 offset:832                           // 000000005B9C: D86C0340 59000081
	ds_read_b32 v90, v129 offset:896                           // 000000005BA4: D86C0380 5A000081
	ds_read_b32 v91, v129 offset:960                           // 000000005BAC: D86C03C0 5B000081
	buffer_load_dwordx4 a[60:63], v111, s[12:15], 0 offen offset:3072// 000000005BB4: E05C1C00 80833C6F
	s_waitcnt lgkmcnt(0)                                       // 000000005BBC: BF8CC07F
	v_max3_f32 v92, v76, v77, v92                              // 000000005BC0: D1D3005C 05729B4C
	v_max3_f32 v92, v78, v79, v92                              // 000000005BC8: D1D3005C 05729F4E
	v_max3_f32 v92, v80, v81, v92                              // 000000005BD0: D1D3005C 0572A350
	v_max3_f32 v92, v82, v83, v92                              // 000000005BD8: D1D3005C 0572A752
	v_max3_f32 v92, v84, v85, v92                              // 000000005BE0: D1D3005C 0572AB54
	v_max3_f32 v92, v86, v87, v92                              // 000000005BE8: D1D3005C 0572AF56
	v_max3_f32 v92, v88, v89, v92                              // 000000005BF0: D1D3005C 0572B358
	v_max3_f32 v92, v90, v91, v92                              // 000000005BF8: D1D3005C 0572B75A
	v_max_f32_e32 v97, v92, v96                                // 000000005C00: 16C2C15C
	v_mul_f32_e64 v72, -s46, v97                               // 000000005C04: D1050048 2002C22E
	v_mov_b32_e32 v73, v72                                     // 000000005C0C: 7E920348
	v_pk_fma_f32 v[16:17], v[16:17], s[46:47], v[72:73]        // 000000005C10: D3B04010 1D205D10
	v_pk_fma_f32 v[18:19], v[18:19], s[46:47], v[72:73]        // 000000005C18: D3B04012 1D205D12
	v_exp_f32_e32 v16, v16                                     // 000000005C20: 7E204110
	v_exp_f32_e32 v17, v17                                     // 000000005C24: 7E224111
	v_exp_f32_e32 v18, v18                                     // 000000005C28: 7E244112
	v_exp_f32_e32 v19, v19                                     // 000000005C2C: 7E264113
	v_pk_fma_f32 v[20:21], v[20:21], s[46:47], v[72:73]        // 000000005C30: D3B04014 1D205D14
	v_pk_fma_f32 v[22:23], v[22:23], s[46:47], v[72:73]        // 000000005C38: D3B04016 1D205D16
	v_exp_f32_e32 v20, v20                                     // 000000005C40: 7E284114
	v_exp_f32_e32 v21, v21                                     // 000000005C44: 7E2A4115
	v_exp_f32_e32 v22, v22                                     // 000000005C48: 7E2C4116
	v_exp_f32_e32 v23, v23                                     // 000000005C4C: 7E2E4117
	v_pk_fma_f32 v[24:25], v[24:25], s[46:47], v[72:73]        // 000000005C50: D3B04018 1D205D18
	v_pk_fma_f32 v[26:27], v[26:27], s[46:47], v[72:73]        // 000000005C58: D3B0401A 1D205D1A
	v_exp_f32_e32 v24, v24                                     // 000000005C60: 7E304118
	v_exp_f32_e32 v25, v25                                     // 000000005C64: 7E324119
	v_exp_f32_e32 v26, v26                                     // 000000005C68: 7E34411A
	v_exp_f32_e32 v27, v27                                     // 000000005C6C: 7E36411B
	v_pk_fma_f32 v[28:29], v[28:29], s[46:47], v[72:73]        // 000000005C70: D3B0401C 1D205D1C
	v_pk_fma_f32 v[30:31], v[30:31], s[46:47], v[72:73]        // 000000005C78: D3B0401E 1D205D1E
	v_exp_f32_e32 v28, v28                                     // 000000005C80: 7E38411C
	v_exp_f32_e32 v29, v29                                     // 000000005C84: 7E3A411D
	v_exp_f32_e32 v30, v30                                     // 000000005C88: 7E3C411E
	v_exp_f32_e32 v31, v31                                     // 000000005C8C: 7E3E411F
	v_mul_f32_dpp v32, v68, v16 row_newbcast:0 row_mask:0xf bank_mask:0xf// 000000005C90: 0A4020FA FF015044
	v_mul_f32_dpp v33, v68, v17 row_newbcast:1 row_mask:0xf bank_mask:0xf// 000000005C98: 0A4222FA FF015144
	v_mul_f32_dpp v34, v68, v18 row_newbcast:2 row_mask:0xf bank_mask:0xf// 000000005CA0: 0A4424FA FF015244
	v_mul_f32_dpp v35, v68, v19 row_newbcast:3 row_mask:0xf bank_mask:0xf// 000000005CA8: 0A4626FA FF015344
	v_mul_f32_dpp v36, v68, v20 row_newbcast:4 row_mask:0xf bank_mask:0xf// 000000005CB0: 0A4828FA FF015444
	v_mul_f32_dpp v37, v68, v21 row_newbcast:5 row_mask:0xf bank_mask:0xf// 000000005CB8: 0A4A2AFA FF015544
	v_mul_f32_dpp v38, v68, v22 row_newbcast:6 row_mask:0xf bank_mask:0xf// 000000005CC0: 0A4C2CFA FF015644
	v_mul_f32_dpp v39, v68, v23 row_newbcast:7 row_mask:0xf bank_mask:0xf// 000000005CC8: 0A4E2EFA FF015744
	v_mul_f32_dpp v40, v68, v24 row_newbcast:8 row_mask:0xf bank_mask:0xf// 000000005CD0: 0A5030FA FF015844
	v_mul_f32_dpp v41, v68, v25 row_newbcast:9 row_mask:0xf bank_mask:0xf// 000000005CD8: 0A5232FA FF015944
	v_mul_f32_dpp v42, v68, v26 row_newbcast:10 row_mask:0xf bank_mask:0xf// 000000005CE0: 0A5434FA FF015A44
	v_mul_f32_dpp v43, v68, v27 row_newbcast:11 row_mask:0xf bank_mask:0xf// 000000005CE8: 0A5636FA FF015B44
	v_mul_f32_dpp v44, v68, v28 row_newbcast:12 row_mask:0xf bank_mask:0xf// 000000005CF0: 0A5838FA FF015C44
	v_mul_f32_dpp v45, v68, v29 row_newbcast:13 row_mask:0xf bank_mask:0xf// 000000005CF8: 0A5A3AFA FF015D44
	v_mul_f32_dpp v46, v68, v30 row_newbcast:14 row_mask:0xf bank_mask:0xf// 000000005D00: 0A5C3CFA FF015E44
	v_mul_f32_dpp v47, v68, v31 row_newbcast:15 row_mask:0xf bank_mask:0xf// 000000005D08: 0A5E3EFA FF015F44
	buffer_load_dword v67, v116, s[20:23], 0 offen             // 000000005D10: E0501000 80054374
	v_sub_f32_e32 v94, v96, v97                                // 000000005D18: 04BCC360
	v_cmp_eq_u32_e64 s[98:99], v107, v96                       // 000000005D1C: D0CA0062 0002C16B
	s_nop 0                                                    // 000000005D24: BF800000
	v_cndmask_b32_e64 v94, v94, 0, s[98:99]                    // 000000005D28: D100005E 0189015E
	v_mov_b32_e32 v96, v97                                     // 000000005D30: 7EC00361
	v_mul_f32_e32 v94, s46, v94                                // 000000005D34: 0ABCBC2E
	v_exp_f32_e32 v94, v94                                     // 000000005D38: 7EBC415E
	s_nop 0                                                    // 000000005D3C: BF800000
	v_mov_b32_e32 v95, v94                                     // 000000005D40: 7EBE035E
	buffer_load_dword v69, v117, s[24:27], 0 offen             // 000000005D44: E0501000 80064575
	s_waitcnt lgkmcnt(0)                                       // 000000005D4C: BF8CC07F
	s_barrier                                                  // 000000005D50: BF8A0000
	v_mul_f32_e32 v98, v94, v98                                // 000000005D54: 0AC4C55E
	v_add_f32_e32 v98, v16, v98                                // 000000005D58: 02C4C510
	v_add_f32_e32 v98, v17, v98                                // 000000005D5C: 02C4C511
	v_add_f32_e32 v98, v18, v98                                // 000000005D60: 02C4C512
	v_add_f32_e32 v98, v19, v98                                // 000000005D64: 02C4C513
	v_add_f32_e32 v98, v20, v98                                // 000000005D68: 02C4C514
	v_add_f32_e32 v98, v21, v98                                // 000000005D6C: 02C4C515
	v_add_f32_e32 v98, v22, v98                                // 000000005D70: 02C4C516
	v_add_f32_e32 v98, v23, v98                                // 000000005D74: 02C4C517
	v_add_f32_e32 v98, v24, v98                                // 000000005D78: 02C4C518
	v_add_f32_e32 v98, v25, v98                                // 000000005D7C: 02C4C519
	v_add_f32_e32 v98, v26, v98                                // 000000005D80: 02C4C51A
	v_add_f32_e32 v98, v27, v98                                // 000000005D84: 02C4C51B
	v_add_f32_e32 v98, v28, v98                                // 000000005D88: 02C4C51C
	v_add_f32_e32 v98, v29, v98                                // 000000005D8C: 02C4C51D
	v_add_f32_e32 v98, v30, v98                                // 000000005D90: 02C4C51E
	v_add_f32_e32 v98, v31, v98                                // 000000005D94: 02C4C51F
	buffer_load_dwordx4 a[100:103], v113, s[16:19], 0 offen    // 000000005D98: E05C1000 80846471
	buffer_load_dwordx4 a[96:99], v112, s[16:19], 0 offen      // 000000005DA0: E05C1000 80846070
	s_waitcnt lgkmcnt(0)                                       // 000000005DA8: BF8CC07F
	v_sub_f32_e32 v92, v92, v96                                // 000000005DAC: 04B8C15C
	v_mul_f32_e32 v92, s46, v92                                // 000000005DB0: 0AB8B82E
	v_exp_f32_e32 v92, v92                                     // 000000005DB4: 7EB8415C
	s_nop 0                                                    // 000000005DB8: BF800000
	v_mul_f32_e32 v92, v68, v92                                // 000000005DBC: 0AB8B944
	v_add_f32_e32 v92, 0x3089705f, v92                         // 000000005DC0: 02B8B8FF 3089705F
	v_rcp_f32_e32 v92, v92                                     // 000000005DC8: 7EB8455C
	s_nop 0                                                    // 000000005DCC: BF800000
	v_mul_f32_e32 v92, 0x43700000, v92                         // 000000005DD0: 0AB8B8FF 43700000
	v_mov_b32_e32 v93, v92                                     // 000000005DD8: 7EBA035C
	v_pk_mul_f32 v[16:17], v[92:93], v[32:33]                  // 000000005DDC: D3B14010 1802415C
	v_pk_mul_f32 v[18:19], v[92:93], v[34:35]                  // 000000005DE4: D3B14012 1802455C
	v_pk_mul_f32 v[20:21], v[92:93], v[36:37]                  // 000000005DEC: D3B14014 1802495C
	v_pk_mul_f32 v[22:23], v[92:93], v[38:39]                  // 000000005DF4: D3B14016 18024D5C
	v_pk_mul_f32 v[24:25], v[92:93], v[40:41]                  // 000000005DFC: D3B14018 1802515C
	v_pk_mul_f32 v[26:27], v[92:93], v[42:43]                  // 000000005E04: D3B1401A 1802555C
	v_pk_mul_f32 v[28:29], v[92:93], v[44:45]                  // 000000005E0C: D3B1401C 1802595C
	v_pk_mul_f32 v[30:31], v[92:93], v[46:47]                  // 000000005E14: D3B1401E 18025D5C
	v_cvt_pk_fp8_f32 v16, v16, v17                             // 000000005E1C: D2A20010 00022310
	v_cvt_pk_fp8_f32 v16, v18, v19 op_sel:[0,0,1]              // 000000005E24: D2A24010 00022712
	v_cvt_pk_fp8_f32 v17, v20, v21                             // 000000005E2C: D2A20011 00022B14
	v_cvt_pk_fp8_f32 v17, v22, v23 op_sel:[0,0,1]              // 000000005E34: D2A24011 00022F16
	v_cvt_pk_fp8_f32 v18, v24, v25                             // 000000005E3C: D2A20012 00023318
	v_cvt_pk_fp8_f32 v18, v26, v27 op_sel:[0,0,1]              // 000000005E44: D2A24012 0002371A
	v_cvt_pk_fp8_f32 v19, v28, v29                             // 000000005E4C: D2A20013 00023B1C
	v_cvt_pk_fp8_f32 v19, v30, v31 op_sel:[0,0,1]              // 000000005E54: D2A24013 00023F1E
	ds_write_b32 v130, v16 offset:2560                         // 000000005E5C: D81A0A00 00001082
	ds_write_b32 v130, v17 offset:3584                         // 000000005E64: D81A0E00 00001182
	ds_write_b32 v130, v18 offset:4608                         // 000000005E6C: D81A1200 00001282
	ds_write_b32 v130, v19 offset:5632                         // 000000005E74: D81A1600 00001382
	v_rcp_f32_e32 v70, v92                                     // 000000005E7C: 7E8C455C
	s_nop 0                                                    // 000000005E80: BF800000
	v_mov_b32_e32 v71, v70                                     // 000000005E84: 7E8E0346
	buffer_load_dwordx4 a[104:107], v114, s[16:19], 0 offen    // 000000005E88: E05C1000 80846872
	v_pk_add_f32 v[56:57], v[56:57], v[48:49]                  // 000000005E90: D3B24038 18026138
	v_pk_add_f32 v[58:59], v[58:59], v[50:51]                  // 000000005E98: D3B2403A 1802653A
	v_pk_add_f32 v[60:61], v[60:61], v[52:53]                  // 000000005EA0: D3B2403C 1802693C
	v_pk_add_f32 v[62:63], v[62:63], v[54:55]                  // 000000005EA8: D3B2403E 18026D3E
	s_waitcnt lgkmcnt(0)                                       // 000000005EB0: BF8CC07F
	s_barrier                                                  // 000000005EB4: BF8A0000
	ds_read_b128 v[16:19], v131 offset:2560                    // 000000005EB8: D9FE0A00 10000083
	ds_read_b128 v[20:23], v131 offset:3584                    // 000000005EC0: D9FE0E00 14000083
	ds_read_b128 v[24:27], v131 offset:4608                    // 000000005EC8: D9FE1200 18000083
	ds_read_b128 v[28:31], v131 offset:5632                    // 000000005ED0: D9FE1600 1C000083
	buffer_load_dwordx4 a[108:111], v115, s[16:19], 0 offen    // 000000005ED8: E05C1000 80846C73
	s_waitcnt vmcnt(14)                                        // 000000005EE0: BF8C0F7E
	s_waitcnt lgkmcnt(3)                                       // 000000005EE4: BF8CC37F
	v_mfma_f32_16x16x32_fp8_fp8 v[48:51], a[64:65], v[16:17], 0// 000000005EE8: D3F30030 0A022140
	v_mfma_f32_16x16x32_fp8_fp8 v[52:55], a[80:81], v[16:17], 0// 000000005EF0: D3F30034 0A022150
	v_mfma_f32_16x16x32_fp8_fp8 v[48:51], a[66:67], v[18:19], v[48:51]// 000000005EF8: D3F30030 0CC22542
	buffer_load_dwordx4 a[112:115], v112, s[16:19], 0 offen offset:1024// 000000005F00: E05C1400 80847070
	v_mfma_f32_16x16x32_fp8_fp8 v[52:55], a[82:83], v[18:19], v[52:55]// 000000005F08: D3F30034 0CD22552
	s_waitcnt lgkmcnt(2)                                       // 000000005F10: BF8CC27F
	v_mfma_f32_16x16x32_fp8_fp8 v[48:51], a[68:69], v[20:21], v[48:51]// 000000005F14: D3F30030 0CC22944
	v_mfma_f32_16x16x32_fp8_fp8 v[52:55], a[84:85], v[20:21], v[52:55]// 000000005F1C: D3F30034 0CD22954
	v_mfma_f32_16x16x32_fp8_fp8 v[48:51], a[70:71], v[22:23], v[48:51]// 000000005F24: D3F30030 0CC22D46
	buffer_load_dwordx4 a[116:119], v113, s[16:19], 0 offen offset:1024// 000000005F2C: E05C1400 80847471
	v_mfma_f32_16x16x32_fp8_fp8 v[52:55], a[86:87], v[22:23], v[52:55]// 000000005F34: D3F30034 0CD22D56
	s_waitcnt lgkmcnt(1)                                       // 000000005F3C: BF8CC17F
	v_mfma_f32_16x16x32_fp8_fp8 v[48:51], a[72:73], v[24:25], v[48:51]// 000000005F40: D3F30030 0CC23148
	v_mfma_f32_16x16x32_fp8_fp8 v[52:55], a[88:89], v[24:25], v[52:55]// 000000005F48: D3F30034 0CD23158
	v_mfma_f32_16x16x32_fp8_fp8 v[48:51], a[74:75], v[26:27], v[48:51]// 000000005F50: D3F30030 0CC2354A
	buffer_load_dwordx4 a[120:123], v114, s[16:19], 0 offen offset:1024// 000000005F58: E05C1400 80847872
	v_mfma_f32_16x16x32_fp8_fp8 v[52:55], a[90:91], v[26:27], v[52:55]// 000000005F60: D3F30034 0CD2355A
	s_waitcnt lgkmcnt(0)                                       // 000000005F68: BF8CC07F
	v_mfma_f32_16x16x32_fp8_fp8 v[48:51], a[76:77], v[28:29], v[48:51]// 000000005F6C: D3F30030 0CC2394C
	v_mfma_f32_16x16x32_fp8_fp8 v[52:55], a[92:93], v[28:29], v[52:55]// 000000005F74: D3F30034 0CD2395C
	v_mfma_f32_16x16x32_fp8_fp8 v[48:51], a[78:79], v[30:31], v[48:51]// 000000005F7C: D3F30030 0CC23D4E
	buffer_load_dwordx4 a[124:127], v115, s[16:19], 0 offen offset:1024// 000000005F84: E05C1400 80847C73
	v_mfma_f32_16x16x32_fp8_fp8 v[52:55], a[94:95], v[30:31], v[52:55]// 000000005F8C: D3F30034 0CD23D5E
	s_addk_i32 s64, 0x100                                      // 000000005F94: B7400100
	s_cmp_lt_i32 s64, s63                                      // 000000005F98: BF043F40
	s_cbranch_scc0 label_1B3B                                  // 000000005F9C: BF840CD3
	s_waitcnt vmcnt(10)                                        // 000000005FA0: BF8C0F7A
	v_mfma_f32_16x16x32_fp8_fp8 v[16:19], a[32:33], v[8:9], 0  // 000000005FA4: D3F30010 0A021120
	s_add_u32 s12, s86, s69                                    // 000000005FAC: 800C4556
	s_addc_u32 s13, s87, 0                                     // 000000005FB0: 820D8057
	v_mfma_f32_16x16x32_fp8_fp8 v[16:19], a[34:35], v[10:11], v[16:19]// 000000005FB4: D3F30010 0C421522
	s_add_u32 s16, s88, s70                                    // 000000005FBC: 80104658
	s_addc_u32 s17, s89, 0                                     // 000000005FC0: 82118059
	v_mfma_f32_16x16x32_fp8_fp8 v[16:19], a[36:37], v[12:13], v[16:19]// 000000005FC4: D3F30010 0C421924
	buffer_load_dwordx4 a[0:3], v110, s[12:15], 0 offen        // 000000005FCC: E05C1000 8083006E
	v_mfma_f32_16x16x32_fp8_fp8 v[16:19], a[38:39], v[14:15], v[16:19]// 000000005FD4: D3F30010 0C421D26
	s_add_u32 s20, s90, s71                                    // 000000005FDC: 8014475A
	s_addc_u32 s21, s91, 0                                     // 000000005FE0: 8215805B
	v_mfma_f32_16x16x32_fp8_fp8 v[20:23], a[40:41], v[8:9], 0  // 000000005FE4: D3F30014 0A021128
	s_add_u32 s24, s92, s71                                    // 000000005FEC: 8018475C
	s_addc_u32 s25, s93, 0                                     // 000000005FF0: 8219805D
	v_mfma_f32_16x16x32_fp8_fp8 v[20:23], a[42:43], v[10:11], v[20:23]// 000000005FF4: D3F30014 0C52152A
	s_add_u32 s69, s69, 0x1000                                 // 000000005FFC: 8045FF45 00001000
	s_add_u32 s70, s70, 0x8000                                 // 000000006004: 8046FF46 00008000
	v_mfma_f32_16x16x32_fp8_fp8 v[20:23], a[44:45], v[12:13], v[20:23]// 00000000600C: D3F30014 0C52192C
	buffer_load_dwordx4 a[4:7], v111, s[12:15], 0 offen        // 000000006014: E05C1000 8083046F
	v_mfma_f32_16x16x32_fp8_fp8 v[20:23], a[46:47], v[14:15], v[20:23]// 00000000601C: D3F30014 0C521D2E
	v_mfma_f32_16x16x32_fp8_fp8 v[24:27], a[48:49], v[8:9], 0  // 000000006024: D3F30018 0A021130
	v_mfma_f32_16x16x32_fp8_fp8 v[24:27], a[50:51], v[10:11], v[24:27]// 00000000602C: D3F30018 0C621532
	v_mfma_f32_16x16x32_fp8_fp8 v[24:27], a[52:53], v[12:13], v[24:27]// 000000006034: D3F30018 0C621934
	buffer_load_dwordx4 a[8:11], v110, s[12:15], 0 offen offset:1024// 00000000603C: E05C1400 8083086E
	v_mfma_f32_16x16x32_fp8_fp8 v[24:27], a[54:55], v[14:15], v[24:27]// 000000006044: D3F30018 0C621D36
	v_mfma_f32_16x16x32_fp8_fp8 v[28:31], a[56:57], v[8:9], 0  // 00000000604C: D3F3001C 0A021138
	v_mfma_f32_16x16x32_fp8_fp8 v[28:31], a[58:59], v[10:11], v[28:31]// 000000006054: D3F3001C 0C72153A
	v_mfma_f32_16x16x32_fp8_fp8 v[28:31], a[60:61], v[12:13], v[28:31]// 00000000605C: D3F3001C 0C72193C
	buffer_load_dwordx4 a[12:15], v111, s[12:15], 0 offen offset:1024// 000000006064: E05C1400 80830C6F
	v_mfma_f32_16x16x32_fp8_fp8 v[28:31], a[62:63], v[14:15], v[28:31]// 00000000606C: D3F3001C 0C721D3E
	s_waitcnt vmcnt(12)                                        // 000000006074: BF8C0F7C
	v_pk_mul_f32 v[16:17], v[64:65], v[16:17]                  // 000000006078: D3B14010 18022140
	v_pk_mul_f32 v[18:19], v[64:65], v[18:19]                  // 000000006080: D3B14012 18022540
	v_mul_f32_dpp v16, v67, v16 row_newbcast:0 row_mask:0xf bank_mask:0xf// 000000006088: 0A2020FA FF015043
	v_mul_f32_dpp v17, v67, v17 row_newbcast:1 row_mask:0xf bank_mask:0xf// 000000006090: 0A2222FA FF015143
	v_mul_f32_dpp v18, v67, v18 row_newbcast:2 row_mask:0xf bank_mask:0xf// 000000006098: 0A2424FA FF015243
	v_mul_f32_dpp v19, v67, v19 row_newbcast:3 row_mask:0xf bank_mask:0xf// 0000000060A0: 0A2626FA FF015343
	v_pk_mul_f32 v[20:21], v[64:65], v[20:21]                  // 0000000060A8: D3B14014 18022940
	v_pk_mul_f32 v[22:23], v[64:65], v[22:23]                  // 0000000060B0: D3B14016 18022D40
	v_mul_f32_dpp v20, v67, v20 row_newbcast:4 row_mask:0xf bank_mask:0xf// 0000000060B8: 0A2828FA FF015443
	v_mul_f32_dpp v21, v67, v21 row_newbcast:5 row_mask:0xf bank_mask:0xf// 0000000060C0: 0A2A2AFA FF015543
	v_mul_f32_dpp v22, v67, v22 row_newbcast:6 row_mask:0xf bank_mask:0xf// 0000000060C8: 0A2C2CFA FF015643
	v_mul_f32_dpp v23, v67, v23 row_newbcast:7 row_mask:0xf bank_mask:0xf// 0000000060D0: 0A2E2EFA FF015743
	v_pk_mul_f32 v[24:25], v[64:65], v[24:25]                  // 0000000060D8: D3B14018 18023140
	v_pk_mul_f32 v[26:27], v[64:65], v[26:27]                  // 0000000060E0: D3B1401A 18023540
	v_mul_f32_dpp v24, v67, v24 row_newbcast:8 row_mask:0xf bank_mask:0xf// 0000000060E8: 0A3030FA FF015843
	v_mul_f32_dpp v25, v67, v25 row_newbcast:9 row_mask:0xf bank_mask:0xf// 0000000060F0: 0A3232FA FF015943
	v_mul_f32_dpp v26, v67, v26 row_newbcast:10 row_mask:0xf bank_mask:0xf// 0000000060F8: 0A3434FA FF015A43
	v_mul_f32_dpp v27, v67, v27 row_newbcast:11 row_mask:0xf bank_mask:0xf// 000000006100: 0A3636FA FF015B43
	v_pk_mul_f32 v[28:29], v[64:65], v[28:29]                  // 000000006108: D3B1401C 18023940
	v_pk_mul_f32 v[30:31], v[64:65], v[30:31]                  // 000000006110: D3B1401E 18023D40
	v_mul_f32_dpp v28, v67, v28 row_newbcast:12 row_mask:0xf bank_mask:0xf// 000000006118: 0A3838FA FF015C43
	v_mul_f32_dpp v29, v67, v29 row_newbcast:13 row_mask:0xf bank_mask:0xf// 000000006120: 0A3A3AFA FF015D43
	v_mul_f32_dpp v30, v67, v30 row_newbcast:14 row_mask:0xf bank_mask:0xf// 000000006128: 0A3C3CFA FF015E43
	v_mul_f32_dpp v31, v67, v31 row_newbcast:15 row_mask:0xf bank_mask:0xf// 000000006130: 0A3E3EFA FF015F43
	buffer_load_dwordx4 a[16:19], v110, s[12:15], 0 offen offset:2048// 000000006138: E05C1800 8083106E
	v_mov_b32_e32 v92, v16                                     // 000000006140: 7EB80310
	v_max3_f32 v92, v16, v17, v92                              // 000000006144: D1D3005C 05722310
	v_max3_f32 v92, v18, v19, v92                              // 00000000614C: D1D3005C 05722712
	v_max3_f32 v92, v20, v21, v92                              // 000000006154: D1D3005C 05722B14
	v_max3_f32 v92, v22, v23, v92                              // 00000000615C: D1D3005C 05722F16
	v_max3_f32 v92, v24, v25, v92                              // 000000006164: D1D3005C 05723318
	v_max3_f32 v92, v26, v27, v92                              // 00000000616C: D1D3005C 0572371A
	v_max3_f32 v92, v28, v29, v92                              // 000000006174: D1D3005C 05723B1C
	v_max3_f32 v92, v30, v31, v92                              // 00000000617C: D1D3005C 05723F1E
	ds_write_b32 v128, v92                                     // 000000006184: D81A0000 00005C80
	v_pk_mul_f32 v[56:57], v[94:95], v[56:57]                  // 00000000618C: D3B14038 1802715E
	v_pk_mul_f32 v[58:59], v[94:95], v[58:59]                  // 000000006194: D3B1403A 1802755E
	v_pk_mul_f32 v[60:61], v[94:95], v[60:61]                  // 00000000619C: D3B1403C 1802795E
	v_pk_mul_f32 v[62:63], v[94:95], v[62:63]                  // 0000000061A4: D3B1403E 18027D5E
	buffer_load_dwordx4 a[20:23], v111, s[12:15], 0 offen offset:2048// 0000000061AC: E05C1800 8083146F
	s_waitcnt lgkmcnt(0)                                       // 0000000061B4: BF8CC07F
	s_barrier                                                  // 0000000061B8: BF8A0000
	v_pk_mul_f32 v[48:49], v[70:71], v[48:49]                  // 0000000061BC: D3B14030 18026146
	v_pk_mul_f32 v[50:51], v[70:71], v[50:51]                  // 0000000061C4: D3B14032 18026546
	v_pk_mul_f32 v[52:53], v[70:71], v[52:53]                  // 0000000061CC: D3B14034 18026946
	v_pk_mul_f32 v[54:55], v[70:71], v[54:55]                  // 0000000061D4: D3B14036 18026D46
	buffer_load_dwordx4 a[24:27], v110, s[12:15], 0 offen offset:3072// 0000000061DC: E05C1C00 8083186E
	ds_read_b32 v76, v129                                      // 0000000061E4: D86C0000 4C000081
	ds_read_b32 v77, v129 offset:64                            // 0000000061EC: D86C0040 4D000081
	ds_read_b32 v78, v129 offset:128                           // 0000000061F4: D86C0080 4E000081
	ds_read_b32 v79, v129 offset:192                           // 0000000061FC: D86C00C0 4F000081
	ds_read_b32 v80, v129 offset:256                           // 000000006204: D86C0100 50000081
	ds_read_b32 v81, v129 offset:320                           // 00000000620C: D86C0140 51000081
	ds_read_b32 v82, v129 offset:384                           // 000000006214: D86C0180 52000081
	ds_read_b32 v83, v129 offset:448                           // 00000000621C: D86C01C0 53000081
	ds_read_b32 v84, v129 offset:512                           // 000000006224: D86C0200 54000081
	ds_read_b32 v85, v129 offset:576                           // 00000000622C: D86C0240 55000081
	ds_read_b32 v86, v129 offset:640                           // 000000006234: D86C0280 56000081
	ds_read_b32 v87, v129 offset:704                           // 00000000623C: D86C02C0 57000081
	ds_read_b32 v88, v129 offset:768                           // 000000006244: D86C0300 58000081
	ds_read_b32 v89, v129 offset:832                           // 00000000624C: D86C0340 59000081
	ds_read_b32 v90, v129 offset:896                           // 000000006254: D86C0380 5A000081
	ds_read_b32 v91, v129 offset:960                           // 00000000625C: D86C03C0 5B000081
	buffer_load_dwordx4 a[28:31], v111, s[12:15], 0 offen offset:3072// 000000006264: E05C1C00 80831C6F
	s_waitcnt lgkmcnt(0)                                       // 00000000626C: BF8CC07F
	v_max3_f32 v92, v76, v77, v92                              // 000000006270: D1D3005C 05729B4C
	v_max3_f32 v92, v78, v79, v92                              // 000000006278: D1D3005C 05729F4E
	v_max3_f32 v92, v80, v81, v92                              // 000000006280: D1D3005C 0572A350
	v_max3_f32 v92, v82, v83, v92                              // 000000006288: D1D3005C 0572A752
	v_max3_f32 v92, v84, v85, v92                              // 000000006290: D1D3005C 0572AB54
	v_max3_f32 v92, v86, v87, v92                              // 000000006298: D1D3005C 0572AF56
	v_max3_f32 v92, v88, v89, v92                              // 0000000062A0: D1D3005C 0572B358
	v_max3_f32 v92, v90, v91, v92                              // 0000000062A8: D1D3005C 0572B75A
	v_max_f32_e32 v97, v92, v96                                // 0000000062B0: 16C2C15C
	v_mul_f32_e64 v72, -s46, v97                               // 0000000062B4: D1050048 2002C22E
	v_mov_b32_e32 v73, v72                                     // 0000000062BC: 7E920348
	v_pk_fma_f32 v[16:17], v[16:17], s[46:47], v[72:73]        // 0000000062C0: D3B04010 1D205D10
	v_pk_fma_f32 v[18:19], v[18:19], s[46:47], v[72:73]        // 0000000062C8: D3B04012 1D205D12
	v_exp_f32_e32 v16, v16                                     // 0000000062D0: 7E204110
	v_exp_f32_e32 v17, v17                                     // 0000000062D4: 7E224111
	v_exp_f32_e32 v18, v18                                     // 0000000062D8: 7E244112
	v_exp_f32_e32 v19, v19                                     // 0000000062DC: 7E264113
	v_pk_fma_f32 v[20:21], v[20:21], s[46:47], v[72:73]        // 0000000062E0: D3B04014 1D205D14
	v_pk_fma_f32 v[22:23], v[22:23], s[46:47], v[72:73]        // 0000000062E8: D3B04016 1D205D16
	v_exp_f32_e32 v20, v20                                     // 0000000062F0: 7E284114
	v_exp_f32_e32 v21, v21                                     // 0000000062F4: 7E2A4115
	v_exp_f32_e32 v22, v22                                     // 0000000062F8: 7E2C4116
	v_exp_f32_e32 v23, v23                                     // 0000000062FC: 7E2E4117
	v_pk_fma_f32 v[24:25], v[24:25], s[46:47], v[72:73]        // 000000006300: D3B04018 1D205D18
	v_pk_fma_f32 v[26:27], v[26:27], s[46:47], v[72:73]        // 000000006308: D3B0401A 1D205D1A
	v_exp_f32_e32 v24, v24                                     // 000000006310: 7E304118
	v_exp_f32_e32 v25, v25                                     // 000000006314: 7E324119
	v_exp_f32_e32 v26, v26                                     // 000000006318: 7E34411A
	v_exp_f32_e32 v27, v27                                     // 00000000631C: 7E36411B
	v_pk_fma_f32 v[28:29], v[28:29], s[46:47], v[72:73]        // 000000006320: D3B0401C 1D205D1C
	v_pk_fma_f32 v[30:31], v[30:31], s[46:47], v[72:73]        // 000000006328: D3B0401E 1D205D1E
	v_exp_f32_e32 v28, v28                                     // 000000006330: 7E38411C
	v_exp_f32_e32 v29, v29                                     // 000000006334: 7E3A411D
	v_exp_f32_e32 v30, v30                                     // 000000006338: 7E3C411E
	v_exp_f32_e32 v31, v31                                     // 00000000633C: 7E3E411F
	v_mul_f32_dpp v32, v69, v16 row_newbcast:0 row_mask:0xf bank_mask:0xf// 000000006340: 0A4020FA FF015045
	v_mul_f32_dpp v33, v69, v17 row_newbcast:1 row_mask:0xf bank_mask:0xf// 000000006348: 0A4222FA FF015145
	v_mul_f32_dpp v34, v69, v18 row_newbcast:2 row_mask:0xf bank_mask:0xf// 000000006350: 0A4424FA FF015245
	v_mul_f32_dpp v35, v69, v19 row_newbcast:3 row_mask:0xf bank_mask:0xf// 000000006358: 0A4626FA FF015345
	v_mul_f32_dpp v36, v69, v20 row_newbcast:4 row_mask:0xf bank_mask:0xf// 000000006360: 0A4828FA FF015445
	v_mul_f32_dpp v37, v69, v21 row_newbcast:5 row_mask:0xf bank_mask:0xf// 000000006368: 0A4A2AFA FF015545
	v_mul_f32_dpp v38, v69, v22 row_newbcast:6 row_mask:0xf bank_mask:0xf// 000000006370: 0A4C2CFA FF015645
	v_mul_f32_dpp v39, v69, v23 row_newbcast:7 row_mask:0xf bank_mask:0xf// 000000006378: 0A4E2EFA FF015745
	v_mul_f32_dpp v40, v69, v24 row_newbcast:8 row_mask:0xf bank_mask:0xf// 000000006380: 0A5030FA FF015845
	v_mul_f32_dpp v41, v69, v25 row_newbcast:9 row_mask:0xf bank_mask:0xf// 000000006388: 0A5232FA FF015945
	v_mul_f32_dpp v42, v69, v26 row_newbcast:10 row_mask:0xf bank_mask:0xf// 000000006390: 0A5434FA FF015A45
	v_mul_f32_dpp v43, v69, v27 row_newbcast:11 row_mask:0xf bank_mask:0xf// 000000006398: 0A5636FA FF015B45
	v_mul_f32_dpp v44, v69, v28 row_newbcast:12 row_mask:0xf bank_mask:0xf// 0000000063A0: 0A5838FA FF015C45
	v_mul_f32_dpp v45, v69, v29 row_newbcast:13 row_mask:0xf bank_mask:0xf// 0000000063A8: 0A5A3AFA FF015D45
	v_mul_f32_dpp v46, v69, v30 row_newbcast:14 row_mask:0xf bank_mask:0xf// 0000000063B0: 0A5C3CFA FF015E45
	v_mul_f32_dpp v47, v69, v31 row_newbcast:15 row_mask:0xf bank_mask:0xf// 0000000063B8: 0A5E3EFA FF015F45
	buffer_load_dword v66, v116, s[20:23], 0 offen             // 0000000063C0: E0501000 80054274
	v_sub_f32_e32 v94, v96, v97                                // 0000000063C8: 04BCC360
	v_cmp_eq_u32_e64 s[98:99], v107, v96                       // 0000000063CC: D0CA0062 0002C16B
	s_nop 0                                                    // 0000000063D4: BF800000
	v_cndmask_b32_e64 v94, v94, 0, s[98:99]                    // 0000000063D8: D100005E 0189015E
	v_mov_b32_e32 v96, v97                                     // 0000000063E0: 7EC00361
	v_mul_f32_e32 v94, s46, v94                                // 0000000063E4: 0ABCBC2E
	v_exp_f32_e32 v94, v94                                     // 0000000063E8: 7EBC415E
	s_nop 0                                                    // 0000000063EC: BF800000
	v_mov_b32_e32 v95, v94                                     // 0000000063F0: 7EBE035E
	buffer_load_dword v68, v117, s[24:27], 0 offen             // 0000000063F4: E0501000 80064475
	s_waitcnt lgkmcnt(0)                                       // 0000000063FC: BF8CC07F
	s_barrier                                                  // 000000006400: BF8A0000
	v_mul_f32_e32 v98, v94, v98                                // 000000006404: 0AC4C55E
	v_add_f32_e32 v98, v16, v98                                // 000000006408: 02C4C510
	v_add_f32_e32 v98, v17, v98                                // 00000000640C: 02C4C511
	v_add_f32_e32 v98, v18, v98                                // 000000006410: 02C4C512
	v_add_f32_e32 v98, v19, v98                                // 000000006414: 02C4C513
	v_add_f32_e32 v98, v20, v98                                // 000000006418: 02C4C514
	v_add_f32_e32 v98, v21, v98                                // 00000000641C: 02C4C515
	v_add_f32_e32 v98, v22, v98                                // 000000006420: 02C4C516
	v_add_f32_e32 v98, v23, v98                                // 000000006424: 02C4C517
	v_add_f32_e32 v98, v24, v98                                // 000000006428: 02C4C518
	v_add_f32_e32 v98, v25, v98                                // 00000000642C: 02C4C519
	v_add_f32_e32 v98, v26, v98                                // 000000006430: 02C4C51A
	v_add_f32_e32 v98, v27, v98                                // 000000006434: 02C4C51B
	v_add_f32_e32 v98, v28, v98                                // 000000006438: 02C4C51C
	v_add_f32_e32 v98, v29, v98                                // 00000000643C: 02C4C51D
	v_add_f32_e32 v98, v30, v98                                // 000000006440: 02C4C51E
	v_add_f32_e32 v98, v31, v98                                // 000000006444: 02C4C51F
	buffer_load_dwordx4 a[68:71], v113, s[16:19], 0 offen      // 000000006448: E05C1000 80844471
	buffer_load_dwordx4 a[64:67], v112, s[16:19], 0 offen      // 000000006450: E05C1000 80844070
	s_waitcnt lgkmcnt(0)                                       // 000000006458: BF8CC07F
	v_sub_f32_e32 v92, v92, v96                                // 00000000645C: 04B8C15C
	v_mul_f32_e32 v92, s46, v92                                // 000000006460: 0AB8B82E
	v_exp_f32_e32 v92, v92                                     // 000000006464: 7EB8415C
	s_nop 0                                                    // 000000006468: BF800000
	v_mul_f32_e32 v92, v69, v92                                // 00000000646C: 0AB8B945
	v_add_f32_e32 v92, 0x3089705f, v92                         // 000000006470: 02B8B8FF 3089705F
	v_rcp_f32_e32 v92, v92                                     // 000000006478: 7EB8455C
	s_nop 0                                                    // 00000000647C: BF800000
	v_mul_f32_e32 v92, 0x43700000, v92                         // 000000006480: 0AB8B8FF 43700000
	v_mov_b32_e32 v93, v92                                     // 000000006488: 7EBA035C
	v_pk_mul_f32 v[16:17], v[92:93], v[32:33]                  // 00000000648C: D3B14010 1802415C
	v_pk_mul_f32 v[18:19], v[92:93], v[34:35]                  // 000000006494: D3B14012 1802455C
	v_pk_mul_f32 v[20:21], v[92:93], v[36:37]                  // 00000000649C: D3B14014 1802495C
	v_pk_mul_f32 v[22:23], v[92:93], v[38:39]                  // 0000000064A4: D3B14016 18024D5C
	v_pk_mul_f32 v[24:25], v[92:93], v[40:41]                  // 0000000064AC: D3B14018 1802515C
	v_pk_mul_f32 v[26:27], v[92:93], v[42:43]                  // 0000000064B4: D3B1401A 1802555C
	v_pk_mul_f32 v[28:29], v[92:93], v[44:45]                  // 0000000064BC: D3B1401C 1802595C
	v_pk_mul_f32 v[30:31], v[92:93], v[46:47]                  // 0000000064C4: D3B1401E 18025D5C
	v_cvt_pk_fp8_f32 v16, v16, v17                             // 0000000064CC: D2A20010 00022310
	v_cvt_pk_fp8_f32 v16, v18, v19 op_sel:[0,0,1]              // 0000000064D4: D2A24010 00022712
	v_cvt_pk_fp8_f32 v17, v20, v21                             // 0000000064DC: D2A20011 00022B14
	v_cvt_pk_fp8_f32 v17, v22, v23 op_sel:[0,0,1]              // 0000000064E4: D2A24011 00022F16
	v_cvt_pk_fp8_f32 v18, v24, v25                             // 0000000064EC: D2A20012 00023318
	v_cvt_pk_fp8_f32 v18, v26, v27 op_sel:[0,0,1]              // 0000000064F4: D2A24012 0002371A
	v_cvt_pk_fp8_f32 v19, v28, v29                             // 0000000064FC: D2A20013 00023B1C
	v_cvt_pk_fp8_f32 v19, v30, v31 op_sel:[0,0,1]              // 000000006504: D2A24013 00023F1E
	ds_write_b32 v130, v16 offset:2560                         // 00000000650C: D81A0A00 00001082
	ds_write_b32 v130, v17 offset:3584                         // 000000006514: D81A0E00 00001182
	ds_write_b32 v130, v18 offset:4608                         // 00000000651C: D81A1200 00001282
	ds_write_b32 v130, v19 offset:5632                         // 000000006524: D81A1600 00001382
	v_rcp_f32_e32 v70, v92                                     // 00000000652C: 7E8C455C
	s_nop 0                                                    // 000000006530: BF800000
	v_mov_b32_e32 v71, v70                                     // 000000006534: 7E8E0346
	buffer_load_dwordx4 a[72:75], v114, s[16:19], 0 offen      // 000000006538: E05C1000 80844872
	v_pk_add_f32 v[56:57], v[56:57], v[48:49]                  // 000000006540: D3B24038 18026138
	v_pk_add_f32 v[58:59], v[58:59], v[50:51]                  // 000000006548: D3B2403A 1802653A
	v_pk_add_f32 v[60:61], v[60:61], v[52:53]                  // 000000006550: D3B2403C 1802693C
	v_pk_add_f32 v[62:63], v[62:63], v[54:55]                  // 000000006558: D3B2403E 18026D3E
	s_waitcnt lgkmcnt(0)                                       // 000000006560: BF8CC07F
	s_barrier                                                  // 000000006564: BF8A0000
	ds_read_b128 v[16:19], v131 offset:2560                    // 000000006568: D9FE0A00 10000083
	ds_read_b128 v[20:23], v131 offset:3584                    // 000000006570: D9FE0E00 14000083
	ds_read_b128 v[24:27], v131 offset:4608                    // 000000006578: D9FE1200 18000083
	ds_read_b128 v[28:31], v131 offset:5632                    // 000000006580: D9FE1600 1C000083
	buffer_load_dwordx4 a[76:79], v115, s[16:19], 0 offen      // 000000006588: E05C1000 80844C73
	s_waitcnt vmcnt(14)                                        // 000000006590: BF8C0F7E
	s_waitcnt lgkmcnt(3)                                       // 000000006594: BF8CC37F
	v_mfma_f32_16x16x32_fp8_fp8 v[48:51], a[96:97], v[16:17], 0// 000000006598: D3F30030 0A022160
	v_mfma_f32_16x16x32_fp8_fp8 v[52:55], a[112:113], v[16:17], 0// 0000000065A0: D3F30034 0A022170
	v_mfma_f32_16x16x32_fp8_fp8 v[48:51], a[98:99], v[18:19], v[48:51]// 0000000065A8: D3F30030 0CC22562
	buffer_load_dwordx4 a[80:83], v112, s[16:19], 0 offen offset:1024// 0000000065B0: E05C1400 80845070
	v_mfma_f32_16x16x32_fp8_fp8 v[52:55], a[114:115], v[18:19], v[52:55]// 0000000065B8: D3F30034 0CD22572
	s_waitcnt lgkmcnt(2)                                       // 0000000065C0: BF8CC27F
	v_mfma_f32_16x16x32_fp8_fp8 v[48:51], a[100:101], v[20:21], v[48:51]// 0000000065C4: D3F30030 0CC22964
	v_mfma_f32_16x16x32_fp8_fp8 v[52:55], a[116:117], v[20:21], v[52:55]// 0000000065CC: D3F30034 0CD22974
	v_mfma_f32_16x16x32_fp8_fp8 v[48:51], a[102:103], v[22:23], v[48:51]// 0000000065D4: D3F30030 0CC22D66
	buffer_load_dwordx4 a[84:87], v113, s[16:19], 0 offen offset:1024// 0000000065DC: E05C1400 80845471
	v_mfma_f32_16x16x32_fp8_fp8 v[52:55], a[118:119], v[22:23], v[52:55]// 0000000065E4: D3F30034 0CD22D76
	s_waitcnt lgkmcnt(1)                                       // 0000000065EC: BF8CC17F
	v_mfma_f32_16x16x32_fp8_fp8 v[48:51], a[104:105], v[24:25], v[48:51]// 0000000065F0: D3F30030 0CC23168
	v_mfma_f32_16x16x32_fp8_fp8 v[52:55], a[120:121], v[24:25], v[52:55]// 0000000065F8: D3F30034 0CD23178
	v_mfma_f32_16x16x32_fp8_fp8 v[48:51], a[106:107], v[26:27], v[48:51]// 000000006600: D3F30030 0CC2356A
	buffer_load_dwordx4 a[88:91], v114, s[16:19], 0 offen offset:1024// 000000006608: E05C1400 80845872
	v_mfma_f32_16x16x32_fp8_fp8 v[52:55], a[122:123], v[26:27], v[52:55]// 000000006610: D3F30034 0CD2357A
	s_waitcnt lgkmcnt(0)                                       // 000000006618: BF8CC07F
	v_mfma_f32_16x16x32_fp8_fp8 v[48:51], a[108:109], v[28:29], v[48:51]// 00000000661C: D3F30030 0CC2396C
	v_mfma_f32_16x16x32_fp8_fp8 v[52:55], a[124:125], v[28:29], v[52:55]// 000000006624: D3F30034 0CD2397C
	v_mfma_f32_16x16x32_fp8_fp8 v[48:51], a[110:111], v[30:31], v[48:51]// 00000000662C: D3F30030 0CC23D6E
	buffer_load_dwordx4 a[92:95], v115, s[16:19], 0 offen offset:1024// 000000006634: E05C1400 80845C73
	v_mfma_f32_16x16x32_fp8_fp8 v[52:55], a[126:127], v[30:31], v[52:55]// 00000000663C: D3F30034 0CD23D7E
	s_addk_i32 s64, 0x100                                      // 000000006644: B7400100
	s_branch label_0959                                        // 000000006648: BF82F946

000000000000664c <label_1013>:
	s_cmp_lt_i32 s64, s62                                      // 00000000664C: BF043E40
	s_cbranch_scc0 label_1EF1                                  // 000000006650: BF840EDC
	s_waitcnt vmcnt(10)                                        // 000000006654: BF8C0F7A
	v_mfma_f32_16x16x32_fp8_fp8 v[16:19], a[0:1], v[8:9], 0    // 000000006658: D3F30010 0A021100
	s_add_u32 s12, s86, s69                                    // 000000006660: 800C4556
	s_addc_u32 s13, s87, 0                                     // 000000006664: 820D8057
	v_mfma_f32_16x16x32_fp8_fp8 v[16:19], a[2:3], v[10:11], v[16:19]// 000000006668: D3F30010 0C421502
	s_add_u32 s16, s88, s70                                    // 000000006670: 80104658
	s_addc_u32 s17, s89, 0                                     // 000000006674: 82118059
	v_mfma_f32_16x16x32_fp8_fp8 v[16:19], a[4:5], v[12:13], v[16:19]// 000000006678: D3F30010 0C421904
	buffer_load_dwordx4 a[32:35], v110, s[12:15], 0 offen      // 000000006680: E05C1000 8083206E
	v_mfma_f32_16x16x32_fp8_fp8 v[16:19], a[6:7], v[14:15], v[16:19]// 000000006688: D3F30010 0C421D06
	s_add_u32 s20, s90, s71                                    // 000000006690: 8014475A
	s_addc_u32 s21, s91, 0                                     // 000000006694: 8215805B
	v_mfma_f32_16x16x32_fp8_fp8 v[20:23], a[8:9], v[8:9], 0    // 000000006698: D3F30014 0A021108
	s_add_u32 s24, s92, s71                                    // 0000000066A0: 8018475C
	s_addc_u32 s25, s93, 0                                     // 0000000066A4: 8219805D
	v_mfma_f32_16x16x32_fp8_fp8 v[20:23], a[10:11], v[10:11], v[20:23]// 0000000066A8: D3F30014 0C52150A
	s_add_u32 s69, s69, 0x1000                                 // 0000000066B0: 8045FF45 00001000
	s_add_u32 s70, s70, 0x8000                                 // 0000000066B8: 8046FF46 00008000
	v_mfma_f32_16x16x32_fp8_fp8 v[20:23], a[12:13], v[12:13], v[20:23]// 0000000066C0: D3F30014 0C52190C
	buffer_load_dwordx4 a[36:39], v111, s[12:15], 0 offen      // 0000000066C8: E05C1000 8083246F
	v_mfma_f32_16x16x32_fp8_fp8 v[20:23], a[14:15], v[14:15], v[20:23]// 0000000066D0: D3F30014 0C521D0E
	v_mfma_f32_16x16x32_fp8_fp8 v[24:27], a[16:17], v[8:9], 0  // 0000000066D8: D3F30018 0A021110
	v_mfma_f32_16x16x32_fp8_fp8 v[24:27], a[18:19], v[10:11], v[24:27]// 0000000066E0: D3F30018 0C621512
	v_mfma_f32_16x16x32_fp8_fp8 v[24:27], a[20:21], v[12:13], v[24:27]// 0000000066E8: D3F30018 0C621914
	buffer_load_dwordx4 a[40:43], v110, s[12:15], 0 offen offset:1024// 0000000066F0: E05C1400 8083286E
	v_mfma_f32_16x16x32_fp8_fp8 v[24:27], a[22:23], v[14:15], v[24:27]// 0000000066F8: D3F30018 0C621D16
	v_mfma_f32_16x16x32_fp8_fp8 v[28:31], a[24:25], v[8:9], 0  // 000000006700: D3F3001C 0A021118
	v_mfma_f32_16x16x32_fp8_fp8 v[28:31], a[26:27], v[10:11], v[28:31]// 000000006708: D3F3001C 0C72151A
	v_mfma_f32_16x16x32_fp8_fp8 v[28:31], a[28:29], v[12:13], v[28:31]// 000000006710: D3F3001C 0C72191C
	buffer_load_dwordx4 a[44:47], v111, s[12:15], 0 offen offset:1024// 000000006718: E05C1400 80832C6F
	v_mfma_f32_16x16x32_fp8_fp8 v[28:31], a[30:31], v[14:15], v[28:31]// 000000006720: D3F3001C 0C721D1E
	s_waitcnt vmcnt(12)                                        // 000000006728: BF8C0F7C
	v_pk_mul_f32 v[16:17], v[64:65], v[16:17]                  // 00000000672C: D3B14010 18022140
	v_pk_mul_f32 v[18:19], v[64:65], v[18:19]                  // 000000006734: D3B14012 18022540
	v_mul_f32_dpp v16, v66, v16 row_newbcast:0 row_mask:0xf bank_mask:0xf// 00000000673C: 0A2020FA FF015042
	v_mul_f32_dpp v17, v66, v17 row_newbcast:1 row_mask:0xf bank_mask:0xf// 000000006744: 0A2222FA FF015142
	v_mul_f32_dpp v18, v66, v18 row_newbcast:2 row_mask:0xf bank_mask:0xf// 00000000674C: 0A2424FA FF015242
	v_mul_f32_dpp v19, v66, v19 row_newbcast:3 row_mask:0xf bank_mask:0xf// 000000006754: 0A2626FA FF015342
	v_pk_mul_f32 v[20:21], v[64:65], v[20:21]                  // 00000000675C: D3B14014 18022940
	v_pk_mul_f32 v[22:23], v[64:65], v[22:23]                  // 000000006764: D3B14016 18022D40
	v_mul_f32_dpp v20, v66, v20 row_newbcast:4 row_mask:0xf bank_mask:0xf// 00000000676C: 0A2828FA FF015442
	v_mul_f32_dpp v21, v66, v21 row_newbcast:5 row_mask:0xf bank_mask:0xf// 000000006774: 0A2A2AFA FF015542
	v_mul_f32_dpp v22, v66, v22 row_newbcast:6 row_mask:0xf bank_mask:0xf// 00000000677C: 0A2C2CFA FF015642
	v_mul_f32_dpp v23, v66, v23 row_newbcast:7 row_mask:0xf bank_mask:0xf// 000000006784: 0A2E2EFA FF015742
	v_pk_mul_f32 v[24:25], v[64:65], v[24:25]                  // 00000000678C: D3B14018 18023140
	v_pk_mul_f32 v[26:27], v[64:65], v[26:27]                  // 000000006794: D3B1401A 18023540
	v_mul_f32_dpp v24, v66, v24 row_newbcast:8 row_mask:0xf bank_mask:0xf// 00000000679C: 0A3030FA FF015842
	v_mul_f32_dpp v25, v66, v25 row_newbcast:9 row_mask:0xf bank_mask:0xf// 0000000067A4: 0A3232FA FF015942
	v_mul_f32_dpp v26, v66, v26 row_newbcast:10 row_mask:0xf bank_mask:0xf// 0000000067AC: 0A3434FA FF015A42
	v_mul_f32_dpp v27, v66, v27 row_newbcast:11 row_mask:0xf bank_mask:0xf// 0000000067B4: 0A3636FA FF015B42
	v_pk_mul_f32 v[28:29], v[64:65], v[28:29]                  // 0000000067BC: D3B1401C 18023940
	v_pk_mul_f32 v[30:31], v[64:65], v[30:31]                  // 0000000067C4: D3B1401E 18023D40
	v_mul_f32_dpp v28, v66, v28 row_newbcast:12 row_mask:0xf bank_mask:0xf// 0000000067CC: 0A3838FA FF015C42
	v_mul_f32_dpp v29, v66, v29 row_newbcast:13 row_mask:0xf bank_mask:0xf// 0000000067D4: 0A3A3AFA FF015D42
	v_mul_f32_dpp v30, v66, v30 row_newbcast:14 row_mask:0xf bank_mask:0xf// 0000000067DC: 0A3C3CFA FF015E42
	v_mul_f32_dpp v31, v66, v31 row_newbcast:15 row_mask:0xf bank_mask:0xf// 0000000067E4: 0A3E3EFA FF015F42
	buffer_load_dwordx4 a[48:51], v110, s[12:15], 0 offen offset:2048// 0000000067EC: E05C1800 8083306E
	v_add_u32_e32 v72, s64, v106                               // 0000000067F4: 6890D440
	v_add_u32_e32 v73, 0, v72                                  // 0000000067F8: 68929080
	v_cmp_lt_u32_e64 s[98:99], v73, v105                       // 0000000067FC: D0C90062 0002D349
	s_nop 0                                                    // 000000006804: BF800000
	v_cndmask_b32_e64 v16, v107, v16, s[98:99]                 // 000000006808: D1000010 018A216B
	v_add_u32_e32 v73, 1, v72                                  // 000000006810: 68929081
	v_cmp_lt_u32_e64 s[98:99], v73, v105                       // 000000006814: D0C90062 0002D349
	s_nop 0                                                    // 00000000681C: BF800000
	v_cndmask_b32_e64 v17, v107, v17, s[98:99]                 // 000000006820: D1000011 018A236B
	v_add_u32_e32 v73, 2, v72                                  // 000000006828: 68929082
	v_cmp_lt_u32_e64 s[98:99], v73, v105                       // 00000000682C: D0C90062 0002D349
	s_nop 0                                                    // 000000006834: BF800000
	v_cndmask_b32_e64 v18, v107, v18, s[98:99]                 // 000000006838: D1000012 018A256B
	v_add_u32_e32 v73, 3, v72                                  // 000000006840: 68929083
	v_cmp_lt_u32_e64 s[98:99], v73, v105                       // 000000006844: D0C90062 0002D349
	s_nop 0                                                    // 00000000684C: BF800000
	v_cndmask_b32_e64 v19, v107, v19, s[98:99]                 // 000000006850: D1000013 018A276B
	v_add_u32_e32 v73, 64, v72                                 // 000000006858: 689290C0
	v_cmp_lt_u32_e64 s[98:99], v73, v105                       // 00000000685C: D0C90062 0002D349
	s_nop 0                                                    // 000000006864: BF800000
	v_cndmask_b32_e64 v20, v107, v20, s[98:99]                 // 000000006868: D1000014 018A296B
	v_add_u32_e32 v73, 0x41, v72                               // 000000006870: 689290FF 00000041
	v_cmp_lt_u32_e64 s[98:99], v73, v105                       // 000000006878: D0C90062 0002D349
	s_nop 0                                                    // 000000006880: BF800000
	v_cndmask_b32_e64 v21, v107, v21, s[98:99]                 // 000000006884: D1000015 018A2B6B
	v_add_u32_e32 v73, 0x42, v72                               // 00000000688C: 689290FF 00000042
	v_cmp_lt_u32_e64 s[98:99], v73, v105                       // 000000006894: D0C90062 0002D349
	s_nop 0                                                    // 00000000689C: BF800000
	v_cndmask_b32_e64 v22, v107, v22, s[98:99]                 // 0000000068A0: D1000016 018A2D6B
	v_add_u32_e32 v73, 0x43, v72                               // 0000000068A8: 689290FF 00000043
	v_cmp_lt_u32_e64 s[98:99], v73, v105                       // 0000000068B0: D0C90062 0002D349
	s_nop 0                                                    // 0000000068B8: BF800000
	v_cndmask_b32_e64 v23, v107, v23, s[98:99]                 // 0000000068BC: D1000017 018A2F6B
	v_add_u32_e32 v73, 0x80, v72                               // 0000000068C4: 689290FF 00000080
	v_cmp_lt_u32_e64 s[98:99], v73, v105                       // 0000000068CC: D0C90062 0002D349
	s_nop 0                                                    // 0000000068D4: BF800000
	v_cndmask_b32_e64 v24, v107, v24, s[98:99]                 // 0000000068D8: D1000018 018A316B
	v_add_u32_e32 v73, 0x81, v72                               // 0000000068E0: 689290FF 00000081
	v_cmp_lt_u32_e64 s[98:99], v73, v105                       // 0000000068E8: D0C90062 0002D349
	s_nop 0                                                    // 0000000068F0: BF800000
	v_cndmask_b32_e64 v25, v107, v25, s[98:99]                 // 0000000068F4: D1000019 018A336B
	v_add_u32_e32 v73, 0x82, v72                               // 0000000068FC: 689290FF 00000082
	v_cmp_lt_u32_e64 s[98:99], v73, v105                       // 000000006904: D0C90062 0002D349
	s_nop 0                                                    // 00000000690C: BF800000
	v_cndmask_b32_e64 v26, v107, v26, s[98:99]                 // 000000006910: D100001A 018A356B
	v_add_u32_e32 v73, 0x83, v72                               // 000000006918: 689290FF 00000083
	v_cmp_lt_u32_e64 s[98:99], v73, v105                       // 000000006920: D0C90062 0002D349
	s_nop 0                                                    // 000000006928: BF800000
	v_cndmask_b32_e64 v27, v107, v27, s[98:99]                 // 00000000692C: D100001B 018A376B
	v_add_u32_e32 v73, 0xc0, v72                               // 000000006934: 689290FF 000000C0
	v_cmp_lt_u32_e64 s[98:99], v73, v105                       // 00000000693C: D0C90062 0002D349
	s_nop 0                                                    // 000000006944: BF800000
	v_cndmask_b32_e64 v28, v107, v28, s[98:99]                 // 000000006948: D100001C 018A396B
	v_add_u32_e32 v73, 0xc1, v72                               // 000000006950: 689290FF 000000C1
	v_cmp_lt_u32_e64 s[98:99], v73, v105                       // 000000006958: D0C90062 0002D349
	s_nop 0                                                    // 000000006960: BF800000
	v_cndmask_b32_e64 v29, v107, v29, s[98:99]                 // 000000006964: D100001D 018A3B6B
	v_add_u32_e32 v73, 0xc2, v72                               // 00000000696C: 689290FF 000000C2
	v_cmp_lt_u32_e64 s[98:99], v73, v105                       // 000000006974: D0C90062 0002D349
	s_nop 0                                                    // 00000000697C: BF800000
	v_cndmask_b32_e64 v30, v107, v30, s[98:99]                 // 000000006980: D100001E 018A3D6B
	v_add_u32_e32 v73, 0xc3, v72                               // 000000006988: 689290FF 000000C3
	v_cmp_lt_u32_e64 s[98:99], v73, v105                       // 000000006990: D0C90062 0002D349
	s_nop 0                                                    // 000000006998: BF800000
	v_cndmask_b32_e64 v31, v107, v31, s[98:99]                 // 00000000699C: D100001F 018A3F6B
	v_mov_b32_e32 v92, v16                                     // 0000000069A4: 7EB80310
	v_max3_f32 v92, v16, v17, v92                              // 0000000069A8: D1D3005C 05722310
	v_max3_f32 v92, v18, v19, v92                              // 0000000069B0: D1D3005C 05722712
	v_max3_f32 v92, v20, v21, v92                              // 0000000069B8: D1D3005C 05722B14
	v_max3_f32 v92, v22, v23, v92                              // 0000000069C0: D1D3005C 05722F16
	v_max3_f32 v92, v24, v25, v92                              // 0000000069C8: D1D3005C 05723318
	v_max3_f32 v92, v26, v27, v92                              // 0000000069D0: D1D3005C 0572371A
	v_max3_f32 v92, v28, v29, v92                              // 0000000069D8: D1D3005C 05723B1C
	v_max3_f32 v92, v30, v31, v92                              // 0000000069E0: D1D3005C 05723F1E
	ds_write_b32 v128, v92                                     // 0000000069E8: D81A0000 00005C80
	v_pk_mul_f32 v[56:57], v[94:95], v[56:57]                  // 0000000069F0: D3B14038 1802715E
	v_pk_mul_f32 v[58:59], v[94:95], v[58:59]                  // 0000000069F8: D3B1403A 1802755E
	v_pk_mul_f32 v[60:61], v[94:95], v[60:61]                  // 000000006A00: D3B1403C 1802795E
	v_pk_mul_f32 v[62:63], v[94:95], v[62:63]                  // 000000006A08: D3B1403E 18027D5E
	buffer_load_dwordx4 a[52:55], v111, s[12:15], 0 offen offset:2048// 000000006A10: E05C1800 8083346F
	s_waitcnt lgkmcnt(0)                                       // 000000006A18: BF8CC07F
	s_barrier                                                  // 000000006A1C: BF8A0000
	ds_read_b32 v76, v129                                      // 000000006A20: D86C0000 4C000081
	ds_read_b32 v77, v129 offset:64                            // 000000006A28: D86C0040 4D000081
	ds_read_b32 v78, v129 offset:128                           // 000000006A30: D86C0080 4E000081
	ds_read_b32 v79, v129 offset:192                           // 000000006A38: D86C00C0 4F000081
	ds_read_b32 v80, v129 offset:256                           // 000000006A40: D86C0100 50000081
	ds_read_b32 v81, v129 offset:320                           // 000000006A48: D86C0140 51000081
	ds_read_b32 v82, v129 offset:384                           // 000000006A50: D86C0180 52000081
	ds_read_b32 v83, v129 offset:448                           // 000000006A58: D86C01C0 53000081
	ds_read_b32 v84, v129 offset:512                           // 000000006A60: D86C0200 54000081
	ds_read_b32 v85, v129 offset:576                           // 000000006A68: D86C0240 55000081
	ds_read_b32 v86, v129 offset:640                           // 000000006A70: D86C0280 56000081
	ds_read_b32 v87, v129 offset:704                           // 000000006A78: D86C02C0 57000081
	ds_read_b32 v88, v129 offset:768                           // 000000006A80: D86C0300 58000081
	ds_read_b32 v89, v129 offset:832                           // 000000006A88: D86C0340 59000081
	ds_read_b32 v90, v129 offset:896                           // 000000006A90: D86C0380 5A000081
	ds_read_b32 v91, v129 offset:960                           // 000000006A98: D86C03C0 5B000081
	buffer_load_dwordx4 a[60:63], v111, s[12:15], 0 offen offset:3072// 000000006AA0: E05C1C00 80833C6F
	v_pk_mul_f32 v[48:49], v[70:71], v[48:49]                  // 000000006AA8: D3B14030 18026146
	v_pk_mul_f32 v[50:51], v[70:71], v[50:51]                  // 000000006AB0: D3B14032 18026546
	v_pk_mul_f32 v[52:53], v[70:71], v[52:53]                  // 000000006AB8: D3B14034 18026946
	v_pk_mul_f32 v[54:55], v[70:71], v[54:55]                  // 000000006AC0: D3B14036 18026D46
	buffer_load_dwordx4 a[56:59], v110, s[12:15], 0 offen offset:3072// 000000006AC8: E05C1C00 8083386E
	s_waitcnt lgkmcnt(0)                                       // 000000006AD0: BF8CC07F
	v_max3_f32 v92, v76, v77, v92                              // 000000006AD4: D1D3005C 05729B4C
	v_max3_f32 v92, v78, v79, v92                              // 000000006ADC: D1D3005C 05729F4E
	v_max3_f32 v92, v80, v81, v92                              // 000000006AE4: D1D3005C 0572A350
	v_max3_f32 v92, v82, v83, v92                              // 000000006AEC: D1D3005C 0572A752
	v_max3_f32 v92, v84, v85, v92                              // 000000006AF4: D1D3005C 0572AB54
	v_max3_f32 v92, v86, v87, v92                              // 000000006AFC: D1D3005C 0572AF56
	v_max3_f32 v92, v88, v89, v92                              // 000000006B04: D1D3005C 0572B358
	v_max3_f32 v92, v90, v91, v92                              // 000000006B0C: D1D3005C 0572B75A
	v_max_f32_e32 v97, v92, v96                                // 000000006B14: 16C2C15C
	v_mul_f32_e64 v72, -s46, v97                               // 000000006B18: D1050048 2002C22E
	v_mov_b32_e32 v73, v72                                     // 000000006B20: 7E920348
	v_pk_fma_f32 v[16:17], v[16:17], s[46:47], v[72:73]        // 000000006B24: D3B04010 1D205D10
	v_pk_fma_f32 v[18:19], v[18:19], s[46:47], v[72:73]        // 000000006B2C: D3B04012 1D205D12
	v_exp_f32_e32 v16, v16                                     // 000000006B34: 7E204110
	v_exp_f32_e32 v17, v17                                     // 000000006B38: 7E224111
	v_exp_f32_e32 v18, v18                                     // 000000006B3C: 7E244112
	v_exp_f32_e32 v19, v19                                     // 000000006B40: 7E264113
	v_pk_fma_f32 v[20:21], v[20:21], s[46:47], v[72:73]        // 000000006B44: D3B04014 1D205D14
	v_pk_fma_f32 v[22:23], v[22:23], s[46:47], v[72:73]        // 000000006B4C: D3B04016 1D205D16
	v_exp_f32_e32 v20, v20                                     // 000000006B54: 7E284114
	v_exp_f32_e32 v21, v21                                     // 000000006B58: 7E2A4115
	v_exp_f32_e32 v22, v22                                     // 000000006B5C: 7E2C4116
	v_exp_f32_e32 v23, v23                                     // 000000006B60: 7E2E4117
	v_pk_fma_f32 v[24:25], v[24:25], s[46:47], v[72:73]        // 000000006B64: D3B04018 1D205D18
	v_pk_fma_f32 v[26:27], v[26:27], s[46:47], v[72:73]        // 000000006B6C: D3B0401A 1D205D1A
	v_exp_f32_e32 v24, v24                                     // 000000006B74: 7E304118
	v_exp_f32_e32 v25, v25                                     // 000000006B78: 7E324119
	v_exp_f32_e32 v26, v26                                     // 000000006B7C: 7E34411A
	v_exp_f32_e32 v27, v27                                     // 000000006B80: 7E36411B
	v_pk_fma_f32 v[28:29], v[28:29], s[46:47], v[72:73]        // 000000006B84: D3B0401C 1D205D1C
	v_pk_fma_f32 v[30:31], v[30:31], s[46:47], v[72:73]        // 000000006B8C: D3B0401E 1D205D1E
	v_exp_f32_e32 v28, v28                                     // 000000006B94: 7E38411C
	v_exp_f32_e32 v29, v29                                     // 000000006B98: 7E3A411D
	v_exp_f32_e32 v30, v30                                     // 000000006B9C: 7E3C411E
	v_exp_f32_e32 v31, v31                                     // 000000006BA0: 7E3E411F
	v_mul_f32_dpp v32, v68, v16 row_newbcast:0 row_mask:0xf bank_mask:0xf// 000000006BA4: 0A4020FA FF015044
	v_mul_f32_dpp v33, v68, v17 row_newbcast:1 row_mask:0xf bank_mask:0xf// 000000006BAC: 0A4222FA FF015144
	v_mul_f32_dpp v34, v68, v18 row_newbcast:2 row_mask:0xf bank_mask:0xf// 000000006BB4: 0A4424FA FF015244
	v_mul_f32_dpp v35, v68, v19 row_newbcast:3 row_mask:0xf bank_mask:0xf// 000000006BBC: 0A4626FA FF015344
	v_mul_f32_dpp v36, v68, v20 row_newbcast:4 row_mask:0xf bank_mask:0xf// 000000006BC4: 0A4828FA FF015444
	v_mul_f32_dpp v37, v68, v21 row_newbcast:5 row_mask:0xf bank_mask:0xf// 000000006BCC: 0A4A2AFA FF015544
	v_mul_f32_dpp v38, v68, v22 row_newbcast:6 row_mask:0xf bank_mask:0xf// 000000006BD4: 0A4C2CFA FF015644
	v_mul_f32_dpp v39, v68, v23 row_newbcast:7 row_mask:0xf bank_mask:0xf// 000000006BDC: 0A4E2EFA FF015744
	v_mul_f32_dpp v40, v68, v24 row_newbcast:8 row_mask:0xf bank_mask:0xf// 000000006BE4: 0A5030FA FF015844
	v_mul_f32_dpp v41, v68, v25 row_newbcast:9 row_mask:0xf bank_mask:0xf// 000000006BEC: 0A5232FA FF015944
	v_mul_f32_dpp v42, v68, v26 row_newbcast:10 row_mask:0xf bank_mask:0xf// 000000006BF4: 0A5434FA FF015A44
	v_mul_f32_dpp v43, v68, v27 row_newbcast:11 row_mask:0xf bank_mask:0xf// 000000006BFC: 0A5636FA FF015B44
	v_mul_f32_dpp v44, v68, v28 row_newbcast:12 row_mask:0xf bank_mask:0xf// 000000006C04: 0A5838FA FF015C44
	v_mul_f32_dpp v45, v68, v29 row_newbcast:13 row_mask:0xf bank_mask:0xf// 000000006C0C: 0A5A3AFA FF015D44
	v_mul_f32_dpp v46, v68, v30 row_newbcast:14 row_mask:0xf bank_mask:0xf// 000000006C14: 0A5C3CFA FF015E44
	v_mul_f32_dpp v47, v68, v31 row_newbcast:15 row_mask:0xf bank_mask:0xf// 000000006C1C: 0A5E3EFA FF015F44
	v_add_u32_e32 v72, s64, v106                               // 000000006C24: 6890D440
	v_add_u32_e32 v73, 0, v72                                  // 000000006C28: 68929080
	v_cmp_lt_u32_e32 vcc, v73, v105                            // 000000006C2C: 7D92D349
	v_cndmask_b32_e32 v32, 0, v32, vcc                         // 000000006C30: 00404080
	v_add_u32_e32 v73, 1, v72                                  // 000000006C34: 68929081
	v_cmp_lt_u32_e32 vcc, v73, v105                            // 000000006C38: 7D92D349
	v_cndmask_b32_e32 v33, 0, v33, vcc                         // 000000006C3C: 00424280
	v_add_u32_e32 v73, 2, v72                                  // 000000006C40: 68929082
	v_cmp_lt_u32_e32 vcc, v73, v105                            // 000000006C44: 7D92D349
	v_cndmask_b32_e32 v34, 0, v34, vcc                         // 000000006C48: 00444480
	v_add_u32_e32 v73, 3, v72                                  // 000000006C4C: 68929083
	v_cmp_lt_u32_e32 vcc, v73, v105                            // 000000006C50: 7D92D349
	v_cndmask_b32_e32 v35, 0, v35, vcc                         // 000000006C54: 00464680
	v_add_u32_e32 v73, 64, v72                                 // 000000006C58: 689290C0
	v_cmp_lt_u32_e32 vcc, v73, v105                            // 000000006C5C: 7D92D349
	v_cndmask_b32_e32 v36, 0, v36, vcc                         // 000000006C60: 00484880
	v_add_u32_e32 v73, 0x41, v72                               // 000000006C64: 689290FF 00000041
	v_cmp_lt_u32_e32 vcc, v73, v105                            // 000000006C6C: 7D92D349
	v_cndmask_b32_e32 v37, 0, v37, vcc                         // 000000006C70: 004A4A80
	v_add_u32_e32 v73, 0x42, v72                               // 000000006C74: 689290FF 00000042
	v_cmp_lt_u32_e32 vcc, v73, v105                            // 000000006C7C: 7D92D349
	v_cndmask_b32_e32 v38, 0, v38, vcc                         // 000000006C80: 004C4C80
	v_add_u32_e32 v73, 0x43, v72                               // 000000006C84: 689290FF 00000043
	v_cmp_lt_u32_e32 vcc, v73, v105                            // 000000006C8C: 7D92D349
	v_cndmask_b32_e32 v39, 0, v39, vcc                         // 000000006C90: 004E4E80
	v_add_u32_e32 v73, 0x80, v72                               // 000000006C94: 689290FF 00000080
	v_cmp_lt_u32_e32 vcc, v73, v105                            // 000000006C9C: 7D92D349
	v_cndmask_b32_e32 v40, 0, v40, vcc                         // 000000006CA0: 00505080
	v_add_u32_e32 v73, 0x81, v72                               // 000000006CA4: 689290FF 00000081
	v_cmp_lt_u32_e32 vcc, v73, v105                            // 000000006CAC: 7D92D349
	v_cndmask_b32_e32 v41, 0, v41, vcc                         // 000000006CB0: 00525280
	v_add_u32_e32 v73, 0x82, v72                               // 000000006CB4: 689290FF 00000082
	v_cmp_lt_u32_e32 vcc, v73, v105                            // 000000006CBC: 7D92D349
	v_cndmask_b32_e32 v42, 0, v42, vcc                         // 000000006CC0: 00545480
	v_add_u32_e32 v73, 0x83, v72                               // 000000006CC4: 689290FF 00000083
	v_cmp_lt_u32_e32 vcc, v73, v105                            // 000000006CCC: 7D92D349
	v_cndmask_b32_e32 v43, 0, v43, vcc                         // 000000006CD0: 00565680
	v_add_u32_e32 v73, 0xc0, v72                               // 000000006CD4: 689290FF 000000C0
	v_cmp_lt_u32_e32 vcc, v73, v105                            // 000000006CDC: 7D92D349
	v_cndmask_b32_e32 v44, 0, v44, vcc                         // 000000006CE0: 00585880
	v_add_u32_e32 v73, 0xc1, v72                               // 000000006CE4: 689290FF 000000C1
	v_cmp_lt_u32_e32 vcc, v73, v105                            // 000000006CEC: 7D92D349
	v_cndmask_b32_e32 v45, 0, v45, vcc                         // 000000006CF0: 005A5A80
	v_add_u32_e32 v73, 0xc2, v72                               // 000000006CF4: 689290FF 000000C2
	v_cmp_lt_u32_e32 vcc, v73, v105                            // 000000006CFC: 7D92D349
	v_cndmask_b32_e32 v46, 0, v46, vcc                         // 000000006D00: 005C5C80
	v_add_u32_e32 v73, 0xc3, v72                               // 000000006D04: 689290FF 000000C3
	v_cmp_lt_u32_e32 vcc, v73, v105                            // 000000006D0C: 7D92D349
	v_cndmask_b32_e32 v47, 0, v47, vcc                         // 000000006D10: 005E5E80
	buffer_load_dword v67, v116, s[20:23], 0 offen             // 000000006D14: E0501000 80054374
	v_sub_f32_e32 v94, v96, v97                                // 000000006D1C: 04BCC360
	v_cmp_eq_u32_e64 s[98:99], v107, v96                       // 000000006D20: D0CA0062 0002C16B
	s_nop 0                                                    // 000000006D28: BF800000
	v_cndmask_b32_e64 v94, v94, 0, s[98:99]                    // 000000006D2C: D100005E 0189015E
	v_mov_b32_e32 v96, v97                                     // 000000006D34: 7EC00361
	v_mul_f32_e32 v94, s46, v94                                // 000000006D38: 0ABCBC2E
	v_exp_f32_e32 v94, v94                                     // 000000006D3C: 7EBC415E
	s_nop 0                                                    // 000000006D40: BF800000
	v_mov_b32_e32 v95, v94                                     // 000000006D44: 7EBE035E
	buffer_load_dword v69, v117, s[24:27], 0 offen             // 000000006D48: E0501000 80064575
	s_waitcnt lgkmcnt(0)                                       // 000000006D50: BF8CC07F
	s_barrier                                                  // 000000006D54: BF8A0000
	buffer_load_dwordx4 a[96:99], v112, s[16:19], 0 offen      // 000000006D58: E05C1000 80846070
	v_mul_f32_e32 v98, v94, v98                                // 000000006D60: 0AC4C55E
	v_add_f32_e32 v98, v16, v98                                // 000000006D64: 02C4C510
	v_add_f32_e32 v98, v17, v98                                // 000000006D68: 02C4C511
	v_add_f32_e32 v98, v18, v98                                // 000000006D6C: 02C4C512
	v_add_f32_e32 v98, v19, v98                                // 000000006D70: 02C4C513
	v_add_f32_e32 v98, v20, v98                                // 000000006D74: 02C4C514
	v_add_f32_e32 v98, v21, v98                                // 000000006D78: 02C4C515
	v_add_f32_e32 v98, v22, v98                                // 000000006D7C: 02C4C516
	v_add_f32_e32 v98, v23, v98                                // 000000006D80: 02C4C517
	v_add_f32_e32 v98, v24, v98                                // 000000006D84: 02C4C518
	v_add_f32_e32 v98, v25, v98                                // 000000006D88: 02C4C519
	v_add_f32_e32 v98, v26, v98                                // 000000006D8C: 02C4C51A
	v_add_f32_e32 v98, v27, v98                                // 000000006D90: 02C4C51B
	v_add_f32_e32 v98, v28, v98                                // 000000006D94: 02C4C51C
	v_add_f32_e32 v98, v29, v98                                // 000000006D98: 02C4C51D
	v_add_f32_e32 v98, v30, v98                                // 000000006D9C: 02C4C51E
	v_add_f32_e32 v98, v31, v98                                // 000000006DA0: 02C4C51F
	buffer_load_dwordx4 a[100:103], v113, s[16:19], 0 offen    // 000000006DA4: E05C1000 80846471
	s_waitcnt lgkmcnt(0)                                       // 000000006DAC: BF8CC07F
	v_sub_f32_e32 v92, v92, v96                                // 000000006DB0: 04B8C15C
	v_mul_f32_e32 v92, s46, v92                                // 000000006DB4: 0AB8B82E
	v_exp_f32_e32 v92, v92                                     // 000000006DB8: 7EB8415C
	s_nop 0                                                    // 000000006DBC: BF800000
	v_mul_f32_e32 v92, v68, v92                                // 000000006DC0: 0AB8B944
	v_add_f32_e32 v92, 0x3089705f, v92                         // 000000006DC4: 02B8B8FF 3089705F
	v_rcp_f32_e32 v92, v92                                     // 000000006DCC: 7EB8455C
	s_nop 0                                                    // 000000006DD0: BF800000
	v_mul_f32_e32 v92, 0x43700000, v92                         // 000000006DD4: 0AB8B8FF 43700000
	v_mov_b32_e32 v93, v92                                     // 000000006DDC: 7EBA035C
	v_pk_mul_f32 v[16:17], v[92:93], v[32:33]                  // 000000006DE0: D3B14010 1802415C
	v_pk_mul_f32 v[18:19], v[92:93], v[34:35]                  // 000000006DE8: D3B14012 1802455C
	v_pk_mul_f32 v[20:21], v[92:93], v[36:37]                  // 000000006DF0: D3B14014 1802495C
	v_pk_mul_f32 v[22:23], v[92:93], v[38:39]                  // 000000006DF8: D3B14016 18024D5C
	v_pk_mul_f32 v[24:25], v[92:93], v[40:41]                  // 000000006E00: D3B14018 1802515C
	v_pk_mul_f32 v[26:27], v[92:93], v[42:43]                  // 000000006E08: D3B1401A 1802555C
	v_pk_mul_f32 v[28:29], v[92:93], v[44:45]                  // 000000006E10: D3B1401C 1802595C
	v_pk_mul_f32 v[30:31], v[92:93], v[46:47]                  // 000000006E18: D3B1401E 18025D5C
	v_cvt_pk_fp8_f32 v16, v16, v17                             // 000000006E20: D2A20010 00022310
	v_cvt_pk_fp8_f32 v16, v18, v19 op_sel:[0,0,1]              // 000000006E28: D2A24010 00022712
	v_cvt_pk_fp8_f32 v17, v20, v21                             // 000000006E30: D2A20011 00022B14
	v_cvt_pk_fp8_f32 v17, v22, v23 op_sel:[0,0,1]              // 000000006E38: D2A24011 00022F16
	v_cvt_pk_fp8_f32 v18, v24, v25                             // 000000006E40: D2A20012 00023318
	v_cvt_pk_fp8_f32 v18, v26, v27 op_sel:[0,0,1]              // 000000006E48: D2A24012 0002371A
	v_cvt_pk_fp8_f32 v19, v28, v29                             // 000000006E50: D2A20013 00023B1C
	v_cvt_pk_fp8_f32 v19, v30, v31 op_sel:[0,0,1]              // 000000006E58: D2A24013 00023F1E
	ds_write_b32 v130, v16 offset:2560                         // 000000006E60: D81A0A00 00001082
	ds_write_b32 v130, v17 offset:3584                         // 000000006E68: D81A0E00 00001182
	ds_write_b32 v130, v18 offset:4608                         // 000000006E70: D81A1200 00001282
	ds_write_b32 v130, v19 offset:5632                         // 000000006E78: D81A1600 00001382
	v_rcp_f32_e32 v70, v92                                     // 000000006E80: 7E8C455C
	s_nop 0                                                    // 000000006E84: BF800000
	v_mov_b32_e32 v71, v70                                     // 000000006E88: 7E8E0346
	buffer_load_dwordx4 a[104:107], v114, s[16:19], 0 offen    // 000000006E8C: E05C1000 80846872
	v_pk_add_f32 v[56:57], v[56:57], v[48:49]                  // 000000006E94: D3B24038 18026138
	v_pk_add_f32 v[58:59], v[58:59], v[50:51]                  // 000000006E9C: D3B2403A 1802653A
	v_pk_add_f32 v[60:61], v[60:61], v[52:53]                  // 000000006EA4: D3B2403C 1802693C
	v_pk_add_f32 v[62:63], v[62:63], v[54:55]                  // 000000006EAC: D3B2403E 18026D3E
	s_waitcnt lgkmcnt(0)                                       // 000000006EB4: BF8CC07F
	s_barrier                                                  // 000000006EB8: BF8A0000
	ds_read_b128 v[16:19], v131 offset:2560                    // 000000006EBC: D9FE0A00 10000083
	ds_read_b128 v[20:23], v131 offset:3584                    // 000000006EC4: D9FE0E00 14000083
	ds_read_b128 v[24:27], v131 offset:4608                    // 000000006ECC: D9FE1200 18000083
	ds_read_b128 v[28:31], v131 offset:5632                    // 000000006ED4: D9FE1600 1C000083
	buffer_load_dwordx4 a[108:111], v115, s[16:19], 0 offen    // 000000006EDC: E05C1000 80846C73
	s_waitcnt vmcnt(14)                                        // 000000006EE4: BF8C0F7E
	v_lshrrev_b32_e32 v100, 4, v0                              // 000000006EE8: 20C80084
	v_lshlrev_b32_e32 v100, 4, v100                            // 000000006EEC: 24C8C884
	v_add_u32_e32 v72, s64, v100                               // 000000006EF0: 6890C840
	v_add_u32_e32 v72, 4, v72                                  // 000000006EF4: 68909084
	v_sub_i32 v72, v72, s62                                    // 000000006EF8: D29D0048 00007D48
	s_mov_b32 s54, 0                                           // 000000006F00: BEB60080
	v_add_i32 v73, s54, v72                                    // 000000006F04: D29C0049 00029036
	v_cmp_lt_i32_e64 vcc, v73, 4                               // 000000006F0C: D0C1006A 00010949
	v_min_u32_e32 v73, 4, v73                                  // 000000006F14: 1C929284
	v_lshlrev_b32_e32 v73, 3, v73                              // 000000006F18: 24929283
	v_lshrrev_b32_e64 v74, v73, -1                             // 000000006F1C: D110004A 00018349
	v_accvgpr_read_b32 v75, a64                                // 000000006F24: D3D8404B 18000140
	v_cndmask_b32_e32 v75, 0, v75, vcc                         // 000000006F2C: 00969680
	v_and_b32_e32 v75, v75, v74                                // 000000006F30: 2696954B
	v_accvgpr_write_b32 a64, v75                               // 000000006F34: D3D94040 1800014B
	v_accvgpr_read_b32 v75, a80                                // 000000006F3C: D3D8404B 18000150
	v_cndmask_b32_e32 v75, 0, v75, vcc                         // 000000006F44: 00969680
	v_and_b32_e32 v75, v75, v74                                // 000000006F48: 2696954B
	v_accvgpr_write_b32 a80, v75                               // 000000006F4C: D3D94050 1800014B
	s_mov_b32 s54, 4                                           // 000000006F54: BEB60084
	v_add_i32 v73, s54, v72                                    // 000000006F58: D29C0049 00029036
	v_cmp_lt_i32_e64 vcc, v73, 4                               // 000000006F60: D0C1006A 00010949
	v_min_u32_e32 v73, 4, v73                                  // 000000006F68: 1C929284
	v_lshlrev_b32_e32 v73, 3, v73                              // 000000006F6C: 24929283
	v_lshrrev_b32_e64 v74, v73, -1                             // 000000006F70: D110004A 00018349
	v_accvgpr_read_b32 v75, a65                                // 000000006F78: D3D8404B 18000141
	v_cndmask_b32_e32 v75, 0, v75, vcc                         // 000000006F80: 00969680
	v_and_b32_e32 v75, v75, v74                                // 000000006F84: 2696954B
	v_accvgpr_write_b32 a65, v75                               // 000000006F88: D3D94041 1800014B
	v_accvgpr_read_b32 v75, a81                                // 000000006F90: D3D8404B 18000151
	v_cndmask_b32_e32 v75, 0, v75, vcc                         // 000000006F98: 00969680
	v_and_b32_e32 v75, v75, v74                                // 000000006F9C: 2696954B
	v_accvgpr_write_b32 a81, v75                               // 000000006FA0: D3D94051 1800014B
	s_mov_b32 s54, 8                                           // 000000006FA8: BEB60088
	v_add_i32 v73, s54, v72                                    // 000000006FAC: D29C0049 00029036
	v_cmp_lt_i32_e64 vcc, v73, 4                               // 000000006FB4: D0C1006A 00010949
	v_min_u32_e32 v73, 4, v73                                  // 000000006FBC: 1C929284
	v_lshlrev_b32_e32 v73, 3, v73                              // 000000006FC0: 24929283
	v_lshrrev_b32_e64 v74, v73, -1                             // 000000006FC4: D110004A 00018349
	v_accvgpr_read_b32 v75, a66                                // 000000006FCC: D3D8404B 18000142
	v_cndmask_b32_e32 v75, 0, v75, vcc                         // 000000006FD4: 00969680
	v_and_b32_e32 v75, v75, v74                                // 000000006FD8: 2696954B
	v_accvgpr_write_b32 a66, v75                               // 000000006FDC: D3D94042 1800014B
	v_accvgpr_read_b32 v75, a82                                // 000000006FE4: D3D8404B 18000152
	v_cndmask_b32_e32 v75, 0, v75, vcc                         // 000000006FEC: 00969680
	v_and_b32_e32 v75, v75, v74                                // 000000006FF0: 2696954B
	v_accvgpr_write_b32 a82, v75                               // 000000006FF4: D3D94052 1800014B
	s_mov_b32 s54, 12                                          // 000000006FFC: BEB6008C
	v_add_i32 v73, s54, v72                                    // 000000007000: D29C0049 00029036
	v_cmp_lt_i32_e64 vcc, v73, 4                               // 000000007008: D0C1006A 00010949
	v_min_u32_e32 v73, 4, v73                                  // 000000007010: 1C929284
	v_lshlrev_b32_e32 v73, 3, v73                              // 000000007014: 24929283
	v_lshrrev_b32_e64 v74, v73, -1                             // 000000007018: D110004A 00018349
	v_accvgpr_read_b32 v75, a67                                // 000000007020: D3D8404B 18000143
	v_cndmask_b32_e32 v75, 0, v75, vcc                         // 000000007028: 00969680
	v_and_b32_e32 v75, v75, v74                                // 00000000702C: 2696954B
	v_accvgpr_write_b32 a67, v75                               // 000000007030: D3D94043 1800014B
	v_accvgpr_read_b32 v75, a83                                // 000000007038: D3D8404B 18000153
	v_cndmask_b32_e32 v75, 0, v75, vcc                         // 000000007040: 00969680
	v_and_b32_e32 v75, v75, v74                                // 000000007044: 2696954B
	v_accvgpr_write_b32 a83, v75                               // 000000007048: D3D94053 1800014B
	s_mov_b32 s54, 64                                          // 000000007050: BEB600C0
	v_add_i32 v73, s54, v72                                    // 000000007054: D29C0049 00029036
	v_cmp_lt_i32_e64 vcc, v73, 4                               // 00000000705C: D0C1006A 00010949
	v_min_u32_e32 v73, 4, v73                                  // 000000007064: 1C929284
	v_lshlrev_b32_e32 v73, 3, v73                              // 000000007068: 24929283
	v_lshrrev_b32_e64 v74, v73, -1                             // 00000000706C: D110004A 00018349
	v_accvgpr_read_b32 v75, a68                                // 000000007074: D3D8404B 18000144
	v_cndmask_b32_e32 v75, 0, v75, vcc                         // 00000000707C: 00969680
	v_and_b32_e32 v75, v75, v74                                // 000000007080: 2696954B
	v_accvgpr_write_b32 a68, v75                               // 000000007084: D3D94044 1800014B
	v_accvgpr_read_b32 v75, a84                                // 00000000708C: D3D8404B 18000154
	v_cndmask_b32_e32 v75, 0, v75, vcc                         // 000000007094: 00969680
	v_and_b32_e32 v75, v75, v74                                // 000000007098: 2696954B
	v_accvgpr_write_b32 a84, v75                               // 00000000709C: D3D94054 1800014B
	s_mov_b32 s54, 0x44                                        // 0000000070A4: BEB600FF 00000044
	v_add_i32 v73, s54, v72                                    // 0000000070AC: D29C0049 00029036
	v_cmp_lt_i32_e64 vcc, v73, 4                               // 0000000070B4: D0C1006A 00010949
	v_min_u32_e32 v73, 4, v73                                  // 0000000070BC: 1C929284
	v_lshlrev_b32_e32 v73, 3, v73                              // 0000000070C0: 24929283
	v_lshrrev_b32_e64 v74, v73, -1                             // 0000000070C4: D110004A 00018349
	v_accvgpr_read_b32 v75, a69                                // 0000000070CC: D3D8404B 18000145
	v_cndmask_b32_e32 v75, 0, v75, vcc                         // 0000000070D4: 00969680
	v_and_b32_e32 v75, v75, v74                                // 0000000070D8: 2696954B
	v_accvgpr_write_b32 a69, v75                               // 0000000070DC: D3D94045 1800014B
	v_accvgpr_read_b32 v75, a85                                // 0000000070E4: D3D8404B 18000155
	v_cndmask_b32_e32 v75, 0, v75, vcc                         // 0000000070EC: 00969680
	v_and_b32_e32 v75, v75, v74                                // 0000000070F0: 2696954B
	v_accvgpr_write_b32 a85, v75                               // 0000000070F4: D3D94055 1800014B
	s_mov_b32 s54, 0x48                                        // 0000000070FC: BEB600FF 00000048
	v_add_i32 v73, s54, v72                                    // 000000007104: D29C0049 00029036
	v_cmp_lt_i32_e64 vcc, v73, 4                               // 00000000710C: D0C1006A 00010949
	v_min_u32_e32 v73, 4, v73                                  // 000000007114: 1C929284
	v_lshlrev_b32_e32 v73, 3, v73                              // 000000007118: 24929283
	v_lshrrev_b32_e64 v74, v73, -1                             // 00000000711C: D110004A 00018349
	v_accvgpr_read_b32 v75, a70                                // 000000007124: D3D8404B 18000146
	v_cndmask_b32_e32 v75, 0, v75, vcc                         // 00000000712C: 00969680
	v_and_b32_e32 v75, v75, v74                                // 000000007130: 2696954B
	v_accvgpr_write_b32 a70, v75                               // 000000007134: D3D94046 1800014B
	v_accvgpr_read_b32 v75, a86                                // 00000000713C: D3D8404B 18000156
	v_cndmask_b32_e32 v75, 0, v75, vcc                         // 000000007144: 00969680
	v_and_b32_e32 v75, v75, v74                                // 000000007148: 2696954B
	v_accvgpr_write_b32 a86, v75                               // 00000000714C: D3D94056 1800014B
	s_mov_b32 s54, 0x4c                                        // 000000007154: BEB600FF 0000004C
	v_add_i32 v73, s54, v72                                    // 00000000715C: D29C0049 00029036
	v_cmp_lt_i32_e64 vcc, v73, 4                               // 000000007164: D0C1006A 00010949
	v_min_u32_e32 v73, 4, v73                                  // 00000000716C: 1C929284
	v_lshlrev_b32_e32 v73, 3, v73                              // 000000007170: 24929283
	v_lshrrev_b32_e64 v74, v73, -1                             // 000000007174: D110004A 00018349
	v_accvgpr_read_b32 v75, a71                                // 00000000717C: D3D8404B 18000147
	v_cndmask_b32_e32 v75, 0, v75, vcc                         // 000000007184: 00969680
	v_and_b32_e32 v75, v75, v74                                // 000000007188: 2696954B
	v_accvgpr_write_b32 a71, v75                               // 00000000718C: D3D94047 1800014B
	v_accvgpr_read_b32 v75, a87                                // 000000007194: D3D8404B 18000157
	v_cndmask_b32_e32 v75, 0, v75, vcc                         // 00000000719C: 00969680
	v_and_b32_e32 v75, v75, v74                                // 0000000071A0: 2696954B
	v_accvgpr_write_b32 a87, v75                               // 0000000071A4: D3D94057 1800014B
	s_mov_b32 s54, 0x80                                        // 0000000071AC: BEB600FF 00000080
	v_add_i32 v73, s54, v72                                    // 0000000071B4: D29C0049 00029036
	v_cmp_lt_i32_e64 vcc, v73, 4                               // 0000000071BC: D0C1006A 00010949
	v_min_u32_e32 v73, 4, v73                                  // 0000000071C4: 1C929284
	v_lshlrev_b32_e32 v73, 3, v73                              // 0000000071C8: 24929283
	v_lshrrev_b32_e64 v74, v73, -1                             // 0000000071CC: D110004A 00018349
	v_accvgpr_read_b32 v75, a72                                // 0000000071D4: D3D8404B 18000148
	v_cndmask_b32_e32 v75, 0, v75, vcc                         // 0000000071DC: 00969680
	v_and_b32_e32 v75, v75, v74                                // 0000000071E0: 2696954B
	v_accvgpr_write_b32 a72, v75                               // 0000000071E4: D3D94048 1800014B
	v_accvgpr_read_b32 v75, a88                                // 0000000071EC: D3D8404B 18000158
	v_cndmask_b32_e32 v75, 0, v75, vcc                         // 0000000071F4: 00969680
	v_and_b32_e32 v75, v75, v74                                // 0000000071F8: 2696954B
	v_accvgpr_write_b32 a88, v75                               // 0000000071FC: D3D94058 1800014B
	s_mov_b32 s54, 0x84                                        // 000000007204: BEB600FF 00000084
	v_add_i32 v73, s54, v72                                    // 00000000720C: D29C0049 00029036
	v_cmp_lt_i32_e64 vcc, v73, 4                               // 000000007214: D0C1006A 00010949
	v_min_u32_e32 v73, 4, v73                                  // 00000000721C: 1C929284
	v_lshlrev_b32_e32 v73, 3, v73                              // 000000007220: 24929283
	v_lshrrev_b32_e64 v74, v73, -1                             // 000000007224: D110004A 00018349
	v_accvgpr_read_b32 v75, a73                                // 00000000722C: D3D8404B 18000149
	v_cndmask_b32_e32 v75, 0, v75, vcc                         // 000000007234: 00969680
	v_and_b32_e32 v75, v75, v74                                // 000000007238: 2696954B
	v_accvgpr_write_b32 a73, v75                               // 00000000723C: D3D94049 1800014B
	v_accvgpr_read_b32 v75, a89                                // 000000007244: D3D8404B 18000159
	v_cndmask_b32_e32 v75, 0, v75, vcc                         // 00000000724C: 00969680
	v_and_b32_e32 v75, v75, v74                                // 000000007250: 2696954B
	v_accvgpr_write_b32 a89, v75                               // 000000007254: D3D94059 1800014B
	s_mov_b32 s54, 0x88                                        // 00000000725C: BEB600FF 00000088
	v_add_i32 v73, s54, v72                                    // 000000007264: D29C0049 00029036
	v_cmp_lt_i32_e64 vcc, v73, 4                               // 00000000726C: D0C1006A 00010949
	v_min_u32_e32 v73, 4, v73                                  // 000000007274: 1C929284
	v_lshlrev_b32_e32 v73, 3, v73                              // 000000007278: 24929283
	v_lshrrev_b32_e64 v74, v73, -1                             // 00000000727C: D110004A 00018349
	v_accvgpr_read_b32 v75, a74                                // 000000007284: D3D8404B 1800014A
	v_cndmask_b32_e32 v75, 0, v75, vcc                         // 00000000728C: 00969680
	v_and_b32_e32 v75, v75, v74                                // 000000007290: 2696954B
	v_accvgpr_write_b32 a74, v75                               // 000000007294: D3D9404A 1800014B
	v_accvgpr_read_b32 v75, a90                                // 00000000729C: D3D8404B 1800015A
	v_cndmask_b32_e32 v75, 0, v75, vcc                         // 0000000072A4: 00969680
	v_and_b32_e32 v75, v75, v74                                // 0000000072A8: 2696954B
	v_accvgpr_write_b32 a90, v75                               // 0000000072AC: D3D9405A 1800014B
	s_mov_b32 s54, 0x8c                                        // 0000000072B4: BEB600FF 0000008C
	v_add_i32 v73, s54, v72                                    // 0000000072BC: D29C0049 00029036
	v_cmp_lt_i32_e64 vcc, v73, 4                               // 0000000072C4: D0C1006A 00010949
	v_min_u32_e32 v73, 4, v73                                  // 0000000072CC: 1C929284
	v_lshlrev_b32_e32 v73, 3, v73                              // 0000000072D0: 24929283
	v_lshrrev_b32_e64 v74, v73, -1                             // 0000000072D4: D110004A 00018349
	v_accvgpr_read_b32 v75, a75                                // 0000000072DC: D3D8404B 1800014B
	v_cndmask_b32_e32 v75, 0, v75, vcc                         // 0000000072E4: 00969680
	v_and_b32_e32 v75, v75, v74                                // 0000000072E8: 2696954B
	v_accvgpr_write_b32 a75, v75                               // 0000000072EC: D3D9404B 1800014B
	v_accvgpr_read_b32 v75, a91                                // 0000000072F4: D3D8404B 1800015B
	v_cndmask_b32_e32 v75, 0, v75, vcc                         // 0000000072FC: 00969680
	v_and_b32_e32 v75, v75, v74                                // 000000007300: 2696954B
	v_accvgpr_write_b32 a91, v75                               // 000000007304: D3D9405B 1800014B
	s_mov_b32 s54, 0xc0                                        // 00000000730C: BEB600FF 000000C0
	v_add_i32 v73, s54, v72                                    // 000000007314: D29C0049 00029036
	v_cmp_lt_i32_e64 vcc, v73, 4                               // 00000000731C: D0C1006A 00010949
	v_min_u32_e32 v73, 4, v73                                  // 000000007324: 1C929284
	v_lshlrev_b32_e32 v73, 3, v73                              // 000000007328: 24929283
	v_lshrrev_b32_e64 v74, v73, -1                             // 00000000732C: D110004A 00018349
	v_accvgpr_read_b32 v75, a76                                // 000000007334: D3D8404B 1800014C
	v_cndmask_b32_e32 v75, 0, v75, vcc                         // 00000000733C: 00969680
	v_and_b32_e32 v75, v75, v74                                // 000000007340: 2696954B
	v_accvgpr_write_b32 a76, v75                               // 000000007344: D3D9404C 1800014B
	v_accvgpr_read_b32 v75, a92                                // 00000000734C: D3D8404B 1800015C
	v_cndmask_b32_e32 v75, 0, v75, vcc                         // 000000007354: 00969680
	v_and_b32_e32 v75, v75, v74                                // 000000007358: 2696954B
	v_accvgpr_write_b32 a92, v75                               // 00000000735C: D3D9405C 1800014B
	s_mov_b32 s54, 0xc4                                        // 000000007364: BEB600FF 000000C4
	v_add_i32 v73, s54, v72                                    // 00000000736C: D29C0049 00029036
	v_cmp_lt_i32_e64 vcc, v73, 4                               // 000000007374: D0C1006A 00010949
	v_min_u32_e32 v73, 4, v73                                  // 00000000737C: 1C929284
	v_lshlrev_b32_e32 v73, 3, v73                              // 000000007380: 24929283
	v_lshrrev_b32_e64 v74, v73, -1                             // 000000007384: D110004A 00018349
	v_accvgpr_read_b32 v75, a77                                // 00000000738C: D3D8404B 1800014D
	v_cndmask_b32_e32 v75, 0, v75, vcc                         // 000000007394: 00969680
	v_and_b32_e32 v75, v75, v74                                // 000000007398: 2696954B
	v_accvgpr_write_b32 a77, v75                               // 00000000739C: D3D9404D 1800014B
	v_accvgpr_read_b32 v75, a93                                // 0000000073A4: D3D8404B 1800015D
	v_cndmask_b32_e32 v75, 0, v75, vcc                         // 0000000073AC: 00969680
	v_and_b32_e32 v75, v75, v74                                // 0000000073B0: 2696954B
	v_accvgpr_write_b32 a93, v75                               // 0000000073B4: D3D9405D 1800014B
	s_mov_b32 s54, 0xc8                                        // 0000000073BC: BEB600FF 000000C8
	v_add_i32 v73, s54, v72                                    // 0000000073C4: D29C0049 00029036
	v_cmp_lt_i32_e64 vcc, v73, 4                               // 0000000073CC: D0C1006A 00010949
	v_min_u32_e32 v73, 4, v73                                  // 0000000073D4: 1C929284
	v_lshlrev_b32_e32 v73, 3, v73                              // 0000000073D8: 24929283
	v_lshrrev_b32_e64 v74, v73, -1                             // 0000000073DC: D110004A 00018349
	v_accvgpr_read_b32 v75, a78                                // 0000000073E4: D3D8404B 1800014E
	v_cndmask_b32_e32 v75, 0, v75, vcc                         // 0000000073EC: 00969680
	v_and_b32_e32 v75, v75, v74                                // 0000000073F0: 2696954B
	v_accvgpr_write_b32 a78, v75                               // 0000000073F4: D3D9404E 1800014B
	v_accvgpr_read_b32 v75, a94                                // 0000000073FC: D3D8404B 1800015E
	v_cndmask_b32_e32 v75, 0, v75, vcc                         // 000000007404: 00969680
	v_and_b32_e32 v75, v75, v74                                // 000000007408: 2696954B
	v_accvgpr_write_b32 a94, v75                               // 00000000740C: D3D9405E 1800014B
	s_mov_b32 s54, 0xcc                                        // 000000007414: BEB600FF 000000CC
	v_add_i32 v73, s54, v72                                    // 00000000741C: D29C0049 00029036
	v_cmp_lt_i32_e64 vcc, v73, 4                               // 000000007424: D0C1006A 00010949
	v_min_u32_e32 v73, 4, v73                                  // 00000000742C: 1C929284
	v_lshlrev_b32_e32 v73, 3, v73                              // 000000007430: 24929283
	v_lshrrev_b32_e64 v74, v73, -1                             // 000000007434: D110004A 00018349
	v_accvgpr_read_b32 v75, a79                                // 00000000743C: D3D8404B 1800014F
	v_cndmask_b32_e32 v75, 0, v75, vcc                         // 000000007444: 00969680
	v_and_b32_e32 v75, v75, v74                                // 000000007448: 2696954B
	v_accvgpr_write_b32 a79, v75                               // 00000000744C: D3D9404F 1800014B
	v_accvgpr_read_b32 v75, a95                                // 000000007454: D3D8404B 1800015F
	v_cndmask_b32_e32 v75, 0, v75, vcc                         // 00000000745C: 00969680
	v_and_b32_e32 v75, v75, v74                                // 000000007460: 2696954B
	v_accvgpr_write_b32 a95, v75                               // 000000007464: D3D9405F 1800014B
	s_waitcnt lgkmcnt(3)                                       // 00000000746C: BF8CC37F
	v_mfma_f32_16x16x32_fp8_fp8 v[48:51], a[64:65], v[16:17], 0// 000000007470: D3F30030 0A022140
	s_lshl_b32 s68, s76, 2                                     // 000000007478: 8E44824C
	v_mfma_f32_16x16x32_fp8_fp8 v[52:55], a[80:81], v[16:17], 0// 00000000747C: D3F30034 0A022150
	s_cmp_lt_u32 s76, s77                                      // 000000007484: BF0A4D4C
	s_cselect_b32 s68, s68, 0                                  // 000000007488: 85448044
	v_mfma_f32_16x16x32_fp8_fp8 v[48:51], a[66:67], v[18:19], v[48:51]// 00000000748C: D3F30030 0CC22542
	buffer_load_dwordx4 a[112:115], v112, s[16:19], 0 offen offset:1024// 000000007494: E05C1400 80847070
	v_mfma_f32_16x16x32_fp8_fp8 v[52:55], a[82:83], v[18:19], v[52:55]// 00000000749C: D3F30034 0CD22552
	s_addk_i32 s76, 0x1                                        // 0000000074A4: B74C0001
	s_waitcnt lgkmcnt(2)                                       // 0000000074A8: BF8CC27F
	v_mfma_f32_16x16x32_fp8_fp8 v[48:51], a[68:69], v[20:21], v[48:51]// 0000000074AC: D3F30030 0CC22944
	v_mfma_f32_16x16x32_fp8_fp8 v[52:55], a[84:85], v[20:21], v[52:55]// 0000000074B4: D3F30034 0CD22954
	v_mfma_f32_16x16x32_fp8_fp8 v[48:51], a[70:71], v[22:23], v[48:51]// 0000000074BC: D3F30030 0CC22D46
	buffer_load_dwordx4 a[116:119], v113, s[16:19], 0 offen offset:1024// 0000000074C4: E05C1400 80847471
	v_mfma_f32_16x16x32_fp8_fp8 v[52:55], a[86:87], v[22:23], v[52:55]// 0000000074CC: D3F30034 0CD22D56
	s_waitcnt lgkmcnt(1)                                       // 0000000074D4: BF8CC17F
	v_mfma_f32_16x16x32_fp8_fp8 v[48:51], a[72:73], v[24:25], v[48:51]// 0000000074D8: D3F30030 0CC23148
	v_mfma_f32_16x16x32_fp8_fp8 v[52:55], a[88:89], v[24:25], v[52:55]// 0000000074E0: D3F30034 0CD23158
	v_mfma_f32_16x16x32_fp8_fp8 v[48:51], a[74:75], v[26:27], v[48:51]// 0000000074E8: D3F30030 0CC2354A
	buffer_load_dwordx4 a[120:123], v114, s[16:19], 0 offen offset:1024// 0000000074F0: E05C1400 80847872
	v_mfma_f32_16x16x32_fp8_fp8 v[52:55], a[90:91], v[26:27], v[52:55]// 0000000074F8: D3F30034 0CD2355A
	s_waitcnt lgkmcnt(0)                                       // 000000007500: BF8CC07F
	v_mfma_f32_16x16x32_fp8_fp8 v[48:51], a[76:77], v[28:29], v[48:51]// 000000007504: D3F30030 0CC2394C
	v_mfma_f32_16x16x32_fp8_fp8 v[52:55], a[92:93], v[28:29], v[52:55]// 00000000750C: D3F30034 0CD2395C
	v_mfma_f32_16x16x32_fp8_fp8 v[48:51], a[78:79], v[30:31], v[48:51]// 000000007514: D3F30030 0CC23D4E
	buffer_load_dwordx4 a[124:127], v115, s[16:19], 0 offen offset:1024// 00000000751C: E05C1400 80847C73
	v_mfma_f32_16x16x32_fp8_fp8 v[52:55], a[94:95], v[30:31], v[52:55]// 000000007524: D3F30034 0CD23D5E
	s_load_dword s59, s[42:43], s68                            // 00000000752C: C0000ED5 00000044
	s_addk_i32 s64, 0x100                                      // 000000007534: B7400100

0000000000007538 <label_13CE>:
	s_cmp_lt_i32 s64, s62                                      // 000000007538: BF043E40
	s_cbranch_scc0 label_1EF1                                  // 00000000753C: BF840B21
	s_waitcnt vmcnt(10)                                        // 000000007540: BF8C0F7A
	v_mfma_f32_16x16x32_fp8_fp8 v[16:19], a[32:33], v[8:9], 0  // 000000007544: D3F30010 0A021120
	s_add_u32 s12, s86, s69                                    // 00000000754C: 800C4556
	s_addc_u32 s13, s87, 0                                     // 000000007550: 820D8057
	v_mfma_f32_16x16x32_fp8_fp8 v[16:19], a[34:35], v[10:11], v[16:19]// 000000007554: D3F30010 0C421522
	s_add_u32 s16, s88, s70                                    // 00000000755C: 80104658
	s_addc_u32 s17, s89, 0                                     // 000000007560: 82118059
	v_mfma_f32_16x16x32_fp8_fp8 v[16:19], a[36:37], v[12:13], v[16:19]// 000000007564: D3F30010 0C421924
	buffer_load_dwordx4 a[0:3], v110, s[12:15], 0 offen        // 00000000756C: E05C1000 8083006E
	v_mfma_f32_16x16x32_fp8_fp8 v[16:19], a[38:39], v[14:15], v[16:19]// 000000007574: D3F30010 0C421D26
	s_add_u32 s20, s90, s71                                    // 00000000757C: 8014475A
	s_addc_u32 s21, s91, 0                                     // 000000007580: 8215805B
	v_mfma_f32_16x16x32_fp8_fp8 v[20:23], a[40:41], v[8:9], 0  // 000000007584: D3F30014 0A021128
	s_add_u32 s24, s92, s71                                    // 00000000758C: 8018475C
	s_addc_u32 s25, s93, 0                                     // 000000007590: 8219805D
	v_mfma_f32_16x16x32_fp8_fp8 v[20:23], a[42:43], v[10:11], v[20:23]// 000000007594: D3F30014 0C52152A
	s_add_u32 s69, s69, 0x1000                                 // 00000000759C: 8045FF45 00001000
	s_add_u32 s70, s70, 0x8000                                 // 0000000075A4: 8046FF46 00008000
	v_mfma_f32_16x16x32_fp8_fp8 v[20:23], a[44:45], v[12:13], v[20:23]// 0000000075AC: D3F30014 0C52192C
	buffer_load_dwordx4 a[4:7], v111, s[12:15], 0 offen        // 0000000075B4: E05C1000 8083046F
	v_mfma_f32_16x16x32_fp8_fp8 v[20:23], a[46:47], v[14:15], v[20:23]// 0000000075BC: D3F30014 0C521D2E
	v_mfma_f32_16x16x32_fp8_fp8 v[24:27], a[48:49], v[8:9], 0  // 0000000075C4: D3F30018 0A021130
	v_mfma_f32_16x16x32_fp8_fp8 v[24:27], a[50:51], v[10:11], v[24:27]// 0000000075CC: D3F30018 0C621532
	v_mfma_f32_16x16x32_fp8_fp8 v[24:27], a[52:53], v[12:13], v[24:27]// 0000000075D4: D3F30018 0C621934
	buffer_load_dwordx4 a[8:11], v110, s[12:15], 0 offen offset:1024// 0000000075DC: E05C1400 8083086E
	v_mfma_f32_16x16x32_fp8_fp8 v[24:27], a[54:55], v[14:15], v[24:27]// 0000000075E4: D3F30018 0C621D36
	v_mfma_f32_16x16x32_fp8_fp8 v[28:31], a[56:57], v[8:9], 0  // 0000000075EC: D3F3001C 0A021138
	v_mfma_f32_16x16x32_fp8_fp8 v[28:31], a[58:59], v[10:11], v[28:31]// 0000000075F4: D3F3001C 0C72153A
	v_mfma_f32_16x16x32_fp8_fp8 v[28:31], a[60:61], v[12:13], v[28:31]// 0000000075FC: D3F3001C 0C72193C
	buffer_load_dwordx4 a[12:15], v111, s[12:15], 0 offen offset:1024// 000000007604: E05C1400 80830C6F
	v_mfma_f32_16x16x32_fp8_fp8 v[28:31], a[62:63], v[14:15], v[28:31]// 00000000760C: D3F3001C 0C721D3E
	s_waitcnt vmcnt(12)                                        // 000000007614: BF8C0F7C
	v_pk_mul_f32 v[16:17], v[64:65], v[16:17]                  // 000000007618: D3B14010 18022140
	v_pk_mul_f32 v[18:19], v[64:65], v[18:19]                  // 000000007620: D3B14012 18022540
	v_mul_f32_dpp v16, v67, v16 row_newbcast:0 row_mask:0xf bank_mask:0xf// 000000007628: 0A2020FA FF015043
	v_mul_f32_dpp v17, v67, v17 row_newbcast:1 row_mask:0xf bank_mask:0xf// 000000007630: 0A2222FA FF015143
	v_mul_f32_dpp v18, v67, v18 row_newbcast:2 row_mask:0xf bank_mask:0xf// 000000007638: 0A2424FA FF015243
	v_mul_f32_dpp v19, v67, v19 row_newbcast:3 row_mask:0xf bank_mask:0xf// 000000007640: 0A2626FA FF015343
	v_pk_mul_f32 v[20:21], v[64:65], v[20:21]                  // 000000007648: D3B14014 18022940
	v_pk_mul_f32 v[22:23], v[64:65], v[22:23]                  // 000000007650: D3B14016 18022D40
	v_mul_f32_dpp v20, v67, v20 row_newbcast:4 row_mask:0xf bank_mask:0xf// 000000007658: 0A2828FA FF015443
	v_mul_f32_dpp v21, v67, v21 row_newbcast:5 row_mask:0xf bank_mask:0xf// 000000007660: 0A2A2AFA FF015543
	v_mul_f32_dpp v22, v67, v22 row_newbcast:6 row_mask:0xf bank_mask:0xf// 000000007668: 0A2C2CFA FF015643
	v_mul_f32_dpp v23, v67, v23 row_newbcast:7 row_mask:0xf bank_mask:0xf// 000000007670: 0A2E2EFA FF015743
	v_pk_mul_f32 v[24:25], v[64:65], v[24:25]                  // 000000007678: D3B14018 18023140
	v_pk_mul_f32 v[26:27], v[64:65], v[26:27]                  // 000000007680: D3B1401A 18023540
	v_mul_f32_dpp v24, v67, v24 row_newbcast:8 row_mask:0xf bank_mask:0xf// 000000007688: 0A3030FA FF015843
	v_mul_f32_dpp v25, v67, v25 row_newbcast:9 row_mask:0xf bank_mask:0xf// 000000007690: 0A3232FA FF015943
	v_mul_f32_dpp v26, v67, v26 row_newbcast:10 row_mask:0xf bank_mask:0xf// 000000007698: 0A3434FA FF015A43
	v_mul_f32_dpp v27, v67, v27 row_newbcast:11 row_mask:0xf bank_mask:0xf// 0000000076A0: 0A3636FA FF015B43
	v_pk_mul_f32 v[28:29], v[64:65], v[28:29]                  // 0000000076A8: D3B1401C 18023940
	v_pk_mul_f32 v[30:31], v[64:65], v[30:31]                  // 0000000076B0: D3B1401E 18023D40
	v_mul_f32_dpp v28, v67, v28 row_newbcast:12 row_mask:0xf bank_mask:0xf// 0000000076B8: 0A3838FA FF015C43
	v_mul_f32_dpp v29, v67, v29 row_newbcast:13 row_mask:0xf bank_mask:0xf// 0000000076C0: 0A3A3AFA FF015D43
	v_mul_f32_dpp v30, v67, v30 row_newbcast:14 row_mask:0xf bank_mask:0xf// 0000000076C8: 0A3C3CFA FF015E43
	v_mul_f32_dpp v31, v67, v31 row_newbcast:15 row_mask:0xf bank_mask:0xf// 0000000076D0: 0A3E3EFA FF015F43
	buffer_load_dwordx4 a[16:19], v110, s[12:15], 0 offen offset:2048// 0000000076D8: E05C1800 8083106E
	v_add_u32_e32 v72, s64, v106                               // 0000000076E0: 6890D440
	v_add_u32_e32 v73, 0, v72                                  // 0000000076E4: 68929080
	v_cmp_lt_u32_e64 s[98:99], v73, v105                       // 0000000076E8: D0C90062 0002D349
	s_nop 0                                                    // 0000000076F0: BF800000
	v_cndmask_b32_e64 v16, v107, v16, s[98:99]                 // 0000000076F4: D1000010 018A216B
	v_add_u32_e32 v73, 1, v72                                  // 0000000076FC: 68929081
	v_cmp_lt_u32_e64 s[98:99], v73, v105                       // 000000007700: D0C90062 0002D349
	s_nop 0                                                    // 000000007708: BF800000
	v_cndmask_b32_e64 v17, v107, v17, s[98:99]                 // 00000000770C: D1000011 018A236B
	v_add_u32_e32 v73, 2, v72                                  // 000000007714: 68929082
	v_cmp_lt_u32_e64 s[98:99], v73, v105                       // 000000007718: D0C90062 0002D349
	s_nop 0                                                    // 000000007720: BF800000
	v_cndmask_b32_e64 v18, v107, v18, s[98:99]                 // 000000007724: D1000012 018A256B
	v_add_u32_e32 v73, 3, v72                                  // 00000000772C: 68929083
	v_cmp_lt_u32_e64 s[98:99], v73, v105                       // 000000007730: D0C90062 0002D349
	s_nop 0                                                    // 000000007738: BF800000
	v_cndmask_b32_e64 v19, v107, v19, s[98:99]                 // 00000000773C: D1000013 018A276B
	v_add_u32_e32 v73, 64, v72                                 // 000000007744: 689290C0
	v_cmp_lt_u32_e64 s[98:99], v73, v105                       // 000000007748: D0C90062 0002D349
	s_nop 0                                                    // 000000007750: BF800000
	v_cndmask_b32_e64 v20, v107, v20, s[98:99]                 // 000000007754: D1000014 018A296B
	v_add_u32_e32 v73, 0x41, v72                               // 00000000775C: 689290FF 00000041
	v_cmp_lt_u32_e64 s[98:99], v73, v105                       // 000000007764: D0C90062 0002D349
	s_nop 0                                                    // 00000000776C: BF800000
	v_cndmask_b32_e64 v21, v107, v21, s[98:99]                 // 000000007770: D1000015 018A2B6B
	v_add_u32_e32 v73, 0x42, v72                               // 000000007778: 689290FF 00000042
	v_cmp_lt_u32_e64 s[98:99], v73, v105                       // 000000007780: D0C90062 0002D349
	s_nop 0                                                    // 000000007788: BF800000
	v_cndmask_b32_e64 v22, v107, v22, s[98:99]                 // 00000000778C: D1000016 018A2D6B
	v_add_u32_e32 v73, 0x43, v72                               // 000000007794: 689290FF 00000043
	v_cmp_lt_u32_e64 s[98:99], v73, v105                       // 00000000779C: D0C90062 0002D349
	s_nop 0                                                    // 0000000077A4: BF800000
	v_cndmask_b32_e64 v23, v107, v23, s[98:99]                 // 0000000077A8: D1000017 018A2F6B
	v_add_u32_e32 v73, 0x80, v72                               // 0000000077B0: 689290FF 00000080
	v_cmp_lt_u32_e64 s[98:99], v73, v105                       // 0000000077B8: D0C90062 0002D349
	s_nop 0                                                    // 0000000077C0: BF800000
	v_cndmask_b32_e64 v24, v107, v24, s[98:99]                 // 0000000077C4: D1000018 018A316B
	v_add_u32_e32 v73, 0x81, v72                               // 0000000077CC: 689290FF 00000081
	v_cmp_lt_u32_e64 s[98:99], v73, v105                       // 0000000077D4: D0C90062 0002D349
	s_nop 0                                                    // 0000000077DC: BF800000
	v_cndmask_b32_e64 v25, v107, v25, s[98:99]                 // 0000000077E0: D1000019 018A336B
	v_add_u32_e32 v73, 0x82, v72                               // 0000000077E8: 689290FF 00000082
	v_cmp_lt_u32_e64 s[98:99], v73, v105                       // 0000000077F0: D0C90062 0002D349
	s_nop 0                                                    // 0000000077F8: BF800000
	v_cndmask_b32_e64 v26, v107, v26, s[98:99]                 // 0000000077FC: D100001A 018A356B
	v_add_u32_e32 v73, 0x83, v72                               // 000000007804: 689290FF 00000083
	v_cmp_lt_u32_e64 s[98:99], v73, v105                       // 00000000780C: D0C90062 0002D349
	s_nop 0                                                    // 000000007814: BF800000
	v_cndmask_b32_e64 v27, v107, v27, s[98:99]                 // 000000007818: D100001B 018A376B
	v_add_u32_e32 v73, 0xc0, v72                               // 000000007820: 689290FF 000000C0
	v_cmp_lt_u32_e64 s[98:99], v73, v105                       // 000000007828: D0C90062 0002D349
	s_nop 0                                                    // 000000007830: BF800000
	v_cndmask_b32_e64 v28, v107, v28, s[98:99]                 // 000000007834: D100001C 018A396B
	v_add_u32_e32 v73, 0xc1, v72                               // 00000000783C: 689290FF 000000C1
	v_cmp_lt_u32_e64 s[98:99], v73, v105                       // 000000007844: D0C90062 0002D349
	s_nop 0                                                    // 00000000784C: BF800000
	v_cndmask_b32_e64 v29, v107, v29, s[98:99]                 // 000000007850: D100001D 018A3B6B
	v_add_u32_e32 v73, 0xc2, v72                               // 000000007858: 689290FF 000000C2
	v_cmp_lt_u32_e64 s[98:99], v73, v105                       // 000000007860: D0C90062 0002D349
	s_nop 0                                                    // 000000007868: BF800000
	v_cndmask_b32_e64 v30, v107, v30, s[98:99]                 // 00000000786C: D100001E 018A3D6B
	v_add_u32_e32 v73, 0xc3, v72                               // 000000007874: 689290FF 000000C3
	v_cmp_lt_u32_e64 s[98:99], v73, v105                       // 00000000787C: D0C90062 0002D349
	s_nop 0                                                    // 000000007884: BF800000
	v_cndmask_b32_e64 v31, v107, v31, s[98:99]                 // 000000007888: D100001F 018A3F6B
	v_mov_b32_e32 v92, v16                                     // 000000007890: 7EB80310
	v_max3_f32 v92, v16, v17, v92                              // 000000007894: D1D3005C 05722310
	v_max3_f32 v92, v18, v19, v92                              // 00000000789C: D1D3005C 05722712
	v_max3_f32 v92, v20, v21, v92                              // 0000000078A4: D1D3005C 05722B14
	v_max3_f32 v92, v22, v23, v92                              // 0000000078AC: D1D3005C 05722F16
	v_max3_f32 v92, v24, v25, v92                              // 0000000078B4: D1D3005C 05723318
	v_max3_f32 v92, v26, v27, v92                              // 0000000078BC: D1D3005C 0572371A
	v_max3_f32 v92, v28, v29, v92                              // 0000000078C4: D1D3005C 05723B1C
	v_max3_f32 v92, v30, v31, v92                              // 0000000078CC: D1D3005C 05723F1E
	ds_write_b32 v128, v92                                     // 0000000078D4: D81A0000 00005C80
	v_pk_mul_f32 v[56:57], v[94:95], v[56:57]                  // 0000000078DC: D3B14038 1802715E
	v_pk_mul_f32 v[58:59], v[94:95], v[58:59]                  // 0000000078E4: D3B1403A 1802755E
	v_pk_mul_f32 v[60:61], v[94:95], v[60:61]                  // 0000000078EC: D3B1403C 1802795E
	v_pk_mul_f32 v[62:63], v[94:95], v[62:63]                  // 0000000078F4: D3B1403E 18027D5E
	buffer_load_dwordx4 a[20:23], v111, s[12:15], 0 offen offset:2048// 0000000078FC: E05C1800 8083146F
	s_waitcnt lgkmcnt(0)                                       // 000000007904: BF8CC07F
	s_barrier                                                  // 000000007908: BF8A0000
	ds_read_b32 v76, v129                                      // 00000000790C: D86C0000 4C000081
	ds_read_b32 v77, v129 offset:64                            // 000000007914: D86C0040 4D000081
	ds_read_b32 v78, v129 offset:128                           // 00000000791C: D86C0080 4E000081
	ds_read_b32 v79, v129 offset:192                           // 000000007924: D86C00C0 4F000081
	ds_read_b32 v80, v129 offset:256                           // 00000000792C: D86C0100 50000081
	ds_read_b32 v81, v129 offset:320                           // 000000007934: D86C0140 51000081
	ds_read_b32 v82, v129 offset:384                           // 00000000793C: D86C0180 52000081
	ds_read_b32 v83, v129 offset:448                           // 000000007944: D86C01C0 53000081
	ds_read_b32 v84, v129 offset:512                           // 00000000794C: D86C0200 54000081
	ds_read_b32 v85, v129 offset:576                           // 000000007954: D86C0240 55000081
	ds_read_b32 v86, v129 offset:640                           // 00000000795C: D86C0280 56000081
	ds_read_b32 v87, v129 offset:704                           // 000000007964: D86C02C0 57000081
	ds_read_b32 v88, v129 offset:768                           // 00000000796C: D86C0300 58000081
	ds_read_b32 v89, v129 offset:832                           // 000000007974: D86C0340 59000081
	ds_read_b32 v90, v129 offset:896                           // 00000000797C: D86C0380 5A000081
	ds_read_b32 v91, v129 offset:960                           // 000000007984: D86C03C0 5B000081
	buffer_load_dwordx4 a[28:31], v111, s[12:15], 0 offen offset:3072// 00000000798C: E05C1C00 80831C6F
	v_pk_mul_f32 v[48:49], v[70:71], v[48:49]                  // 000000007994: D3B14030 18026146
	v_pk_mul_f32 v[50:51], v[70:71], v[50:51]                  // 00000000799C: D3B14032 18026546
	v_pk_mul_f32 v[52:53], v[70:71], v[52:53]                  // 0000000079A4: D3B14034 18026946
	v_pk_mul_f32 v[54:55], v[70:71], v[54:55]                  // 0000000079AC: D3B14036 18026D46
	buffer_load_dwordx4 a[24:27], v110, s[12:15], 0 offen offset:3072// 0000000079B4: E05C1C00 8083186E
	s_waitcnt lgkmcnt(0)                                       // 0000000079BC: BF8CC07F
	v_max3_f32 v92, v76, v77, v92                              // 0000000079C0: D1D3005C 05729B4C
	v_max3_f32 v92, v78, v79, v92                              // 0000000079C8: D1D3005C 05729F4E
	v_max3_f32 v92, v80, v81, v92                              // 0000000079D0: D1D3005C 0572A350
	v_max3_f32 v92, v82, v83, v92                              // 0000000079D8: D1D3005C 0572A752
	v_max3_f32 v92, v84, v85, v92                              // 0000000079E0: D1D3005C 0572AB54
	v_max3_f32 v92, v86, v87, v92                              // 0000000079E8: D1D3005C 0572AF56
	v_max3_f32 v92, v88, v89, v92                              // 0000000079F0: D1D3005C 0572B358
	v_max3_f32 v92, v90, v91, v92                              // 0000000079F8: D1D3005C 0572B75A
	v_max_f32_e32 v97, v92, v96                                // 000000007A00: 16C2C15C
	v_mul_f32_e64 v72, -s46, v97                               // 000000007A04: D1050048 2002C22E
	v_mov_b32_e32 v73, v72                                     // 000000007A0C: 7E920348
	v_pk_fma_f32 v[16:17], v[16:17], s[46:47], v[72:73]        // 000000007A10: D3B04010 1D205D10
	v_pk_fma_f32 v[18:19], v[18:19], s[46:47], v[72:73]        // 000000007A18: D3B04012 1D205D12
	v_exp_f32_e32 v16, v16                                     // 000000007A20: 7E204110
	v_exp_f32_e32 v17, v17                                     // 000000007A24: 7E224111
	v_exp_f32_e32 v18, v18                                     // 000000007A28: 7E244112
	v_exp_f32_e32 v19, v19                                     // 000000007A2C: 7E264113
	v_pk_fma_f32 v[20:21], v[20:21], s[46:47], v[72:73]        // 000000007A30: D3B04014 1D205D14
	v_pk_fma_f32 v[22:23], v[22:23], s[46:47], v[72:73]        // 000000007A38: D3B04016 1D205D16
	v_exp_f32_e32 v20, v20                                     // 000000007A40: 7E284114
	v_exp_f32_e32 v21, v21                                     // 000000007A44: 7E2A4115
	v_exp_f32_e32 v22, v22                                     // 000000007A48: 7E2C4116
	v_exp_f32_e32 v23, v23                                     // 000000007A4C: 7E2E4117
	v_pk_fma_f32 v[24:25], v[24:25], s[46:47], v[72:73]        // 000000007A50: D3B04018 1D205D18
	v_pk_fma_f32 v[26:27], v[26:27], s[46:47], v[72:73]        // 000000007A58: D3B0401A 1D205D1A
	v_exp_f32_e32 v24, v24                                     // 000000007A60: 7E304118
	v_exp_f32_e32 v25, v25                                     // 000000007A64: 7E324119
	v_exp_f32_e32 v26, v26                                     // 000000007A68: 7E34411A
	v_exp_f32_e32 v27, v27                                     // 000000007A6C: 7E36411B
	v_pk_fma_f32 v[28:29], v[28:29], s[46:47], v[72:73]        // 000000007A70: D3B0401C 1D205D1C
	v_pk_fma_f32 v[30:31], v[30:31], s[46:47], v[72:73]        // 000000007A78: D3B0401E 1D205D1E
	v_exp_f32_e32 v28, v28                                     // 000000007A80: 7E38411C
	v_exp_f32_e32 v29, v29                                     // 000000007A84: 7E3A411D
	v_exp_f32_e32 v30, v30                                     // 000000007A88: 7E3C411E
	v_exp_f32_e32 v31, v31                                     // 000000007A8C: 7E3E411F
	v_mul_f32_dpp v32, v69, v16 row_newbcast:0 row_mask:0xf bank_mask:0xf// 000000007A90: 0A4020FA FF015045
	v_mul_f32_dpp v33, v69, v17 row_newbcast:1 row_mask:0xf bank_mask:0xf// 000000007A98: 0A4222FA FF015145
	v_mul_f32_dpp v34, v69, v18 row_newbcast:2 row_mask:0xf bank_mask:0xf// 000000007AA0: 0A4424FA FF015245
	v_mul_f32_dpp v35, v69, v19 row_newbcast:3 row_mask:0xf bank_mask:0xf// 000000007AA8: 0A4626FA FF015345
	v_mul_f32_dpp v36, v69, v20 row_newbcast:4 row_mask:0xf bank_mask:0xf// 000000007AB0: 0A4828FA FF015445
	v_mul_f32_dpp v37, v69, v21 row_newbcast:5 row_mask:0xf bank_mask:0xf// 000000007AB8: 0A4A2AFA FF015545
	v_mul_f32_dpp v38, v69, v22 row_newbcast:6 row_mask:0xf bank_mask:0xf// 000000007AC0: 0A4C2CFA FF015645
	v_mul_f32_dpp v39, v69, v23 row_newbcast:7 row_mask:0xf bank_mask:0xf// 000000007AC8: 0A4E2EFA FF015745
	v_mul_f32_dpp v40, v69, v24 row_newbcast:8 row_mask:0xf bank_mask:0xf// 000000007AD0: 0A5030FA FF015845
	v_mul_f32_dpp v41, v69, v25 row_newbcast:9 row_mask:0xf bank_mask:0xf// 000000007AD8: 0A5232FA FF015945
	v_mul_f32_dpp v42, v69, v26 row_newbcast:10 row_mask:0xf bank_mask:0xf// 000000007AE0: 0A5434FA FF015A45
	v_mul_f32_dpp v43, v69, v27 row_newbcast:11 row_mask:0xf bank_mask:0xf// 000000007AE8: 0A5636FA FF015B45
	v_mul_f32_dpp v44, v69, v28 row_newbcast:12 row_mask:0xf bank_mask:0xf// 000000007AF0: 0A5838FA FF015C45
	v_mul_f32_dpp v45, v69, v29 row_newbcast:13 row_mask:0xf bank_mask:0xf// 000000007AF8: 0A5A3AFA FF015D45
	v_mul_f32_dpp v46, v69, v30 row_newbcast:14 row_mask:0xf bank_mask:0xf// 000000007B00: 0A5C3CFA FF015E45
	v_mul_f32_dpp v47, v69, v31 row_newbcast:15 row_mask:0xf bank_mask:0xf// 000000007B08: 0A5E3EFA FF015F45
	v_add_u32_e32 v72, s64, v106                               // 000000007B10: 6890D440
	v_add_u32_e32 v73, 0, v72                                  // 000000007B14: 68929080
	v_cmp_lt_u32_e32 vcc, v73, v105                            // 000000007B18: 7D92D349
	v_cndmask_b32_e32 v32, 0, v32, vcc                         // 000000007B1C: 00404080
	v_add_u32_e32 v73, 1, v72                                  // 000000007B20: 68929081
	v_cmp_lt_u32_e32 vcc, v73, v105                            // 000000007B24: 7D92D349
	v_cndmask_b32_e32 v33, 0, v33, vcc                         // 000000007B28: 00424280
	v_add_u32_e32 v73, 2, v72                                  // 000000007B2C: 68929082
	v_cmp_lt_u32_e32 vcc, v73, v105                            // 000000007B30: 7D92D349
	v_cndmask_b32_e32 v34, 0, v34, vcc                         // 000000007B34: 00444480
	v_add_u32_e32 v73, 3, v72                                  // 000000007B38: 68929083
	v_cmp_lt_u32_e32 vcc, v73, v105                            // 000000007B3C: 7D92D349
	v_cndmask_b32_e32 v35, 0, v35, vcc                         // 000000007B40: 00464680
	v_add_u32_e32 v73, 64, v72                                 // 000000007B44: 689290C0
	v_cmp_lt_u32_e32 vcc, v73, v105                            // 000000007B48: 7D92D349
	v_cndmask_b32_e32 v36, 0, v36, vcc                         // 000000007B4C: 00484880
	v_add_u32_e32 v73, 0x41, v72                               // 000000007B50: 689290FF 00000041
	v_cmp_lt_u32_e32 vcc, v73, v105                            // 000000007B58: 7D92D349
	v_cndmask_b32_e32 v37, 0, v37, vcc                         // 000000007B5C: 004A4A80
	v_add_u32_e32 v73, 0x42, v72                               // 000000007B60: 689290FF 00000042
	v_cmp_lt_u32_e32 vcc, v73, v105                            // 000000007B68: 7D92D349
	v_cndmask_b32_e32 v38, 0, v38, vcc                         // 000000007B6C: 004C4C80
	v_add_u32_e32 v73, 0x43, v72                               // 000000007B70: 689290FF 00000043
	v_cmp_lt_u32_e32 vcc, v73, v105                            // 000000007B78: 7D92D349
	v_cndmask_b32_e32 v39, 0, v39, vcc                         // 000000007B7C: 004E4E80
	v_add_u32_e32 v73, 0x80, v72                               // 000000007B80: 689290FF 00000080
	v_cmp_lt_u32_e32 vcc, v73, v105                            // 000000007B88: 7D92D349
	v_cndmask_b32_e32 v40, 0, v40, vcc                         // 000000007B8C: 00505080
	v_add_u32_e32 v73, 0x81, v72                               // 000000007B90: 689290FF 00000081
	v_cmp_lt_u32_e32 vcc, v73, v105                            // 000000007B98: 7D92D349
	v_cndmask_b32_e32 v41, 0, v41, vcc                         // 000000007B9C: 00525280
	v_add_u32_e32 v73, 0x82, v72                               // 000000007BA0: 689290FF 00000082
	v_cmp_lt_u32_e32 vcc, v73, v105                            // 000000007BA8: 7D92D349
	v_cndmask_b32_e32 v42, 0, v42, vcc                         // 000000007BAC: 00545480
	v_add_u32_e32 v73, 0x83, v72                               // 000000007BB0: 689290FF 00000083
	v_cmp_lt_u32_e32 vcc, v73, v105                            // 000000007BB8: 7D92D349
	v_cndmask_b32_e32 v43, 0, v43, vcc                         // 000000007BBC: 00565680
	v_add_u32_e32 v73, 0xc0, v72                               // 000000007BC0: 689290FF 000000C0
	v_cmp_lt_u32_e32 vcc, v73, v105                            // 000000007BC8: 7D92D349
	v_cndmask_b32_e32 v44, 0, v44, vcc                         // 000000007BCC: 00585880
	v_add_u32_e32 v73, 0xc1, v72                               // 000000007BD0: 689290FF 000000C1
	v_cmp_lt_u32_e32 vcc, v73, v105                            // 000000007BD8: 7D92D349
	v_cndmask_b32_e32 v45, 0, v45, vcc                         // 000000007BDC: 005A5A80
	v_add_u32_e32 v73, 0xc2, v72                               // 000000007BE0: 689290FF 000000C2
	v_cmp_lt_u32_e32 vcc, v73, v105                            // 000000007BE8: 7D92D349
	v_cndmask_b32_e32 v46, 0, v46, vcc                         // 000000007BEC: 005C5C80
	v_add_u32_e32 v73, 0xc3, v72                               // 000000007BF0: 689290FF 000000C3
	v_cmp_lt_u32_e32 vcc, v73, v105                            // 000000007BF8: 7D92D349
	v_cndmask_b32_e32 v47, 0, v47, vcc                         // 000000007BFC: 005E5E80
	buffer_load_dword v66, v116, s[20:23], 0 offen             // 000000007C00: E0501000 80054274
	v_sub_f32_e32 v94, v96, v97                                // 000000007C08: 04BCC360
	v_cmp_eq_u32_e64 s[98:99], v107, v96                       // 000000007C0C: D0CA0062 0002C16B
	s_nop 0                                                    // 000000007C14: BF800000
	v_cndmask_b32_e64 v94, v94, 0, s[98:99]                    // 000000007C18: D100005E 0189015E
	v_mov_b32_e32 v96, v97                                     // 000000007C20: 7EC00361
	v_mul_f32_e32 v94, s46, v94                                // 000000007C24: 0ABCBC2E
	v_exp_f32_e32 v94, v94                                     // 000000007C28: 7EBC415E
	s_nop 0                                                    // 000000007C2C: BF800000
	v_mov_b32_e32 v95, v94                                     // 000000007C30: 7EBE035E
	buffer_load_dword v68, v117, s[24:27], 0 offen             // 000000007C34: E0501000 80064475
	s_waitcnt lgkmcnt(0)                                       // 000000007C3C: BF8CC07F
	s_barrier                                                  // 000000007C40: BF8A0000
	buffer_load_dwordx4 a[64:67], v112, s[16:19], 0 offen      // 000000007C44: E05C1000 80844070
	v_mul_f32_e32 v98, v94, v98                                // 000000007C4C: 0AC4C55E
	v_add_f32_e32 v98, v16, v98                                // 000000007C50: 02C4C510
	v_add_f32_e32 v98, v17, v98                                // 000000007C54: 02C4C511
	v_add_f32_e32 v98, v18, v98                                // 000000007C58: 02C4C512
	v_add_f32_e32 v98, v19, v98                                // 000000007C5C: 02C4C513
	v_add_f32_e32 v98, v20, v98                                // 000000007C60: 02C4C514
	v_add_f32_e32 v98, v21, v98                                // 000000007C64: 02C4C515
	v_add_f32_e32 v98, v22, v98                                // 000000007C68: 02C4C516
	v_add_f32_e32 v98, v23, v98                                // 000000007C6C: 02C4C517
	v_add_f32_e32 v98, v24, v98                                // 000000007C70: 02C4C518
	v_add_f32_e32 v98, v25, v98                                // 000000007C74: 02C4C519
	v_add_f32_e32 v98, v26, v98                                // 000000007C78: 02C4C51A
	v_add_f32_e32 v98, v27, v98                                // 000000007C7C: 02C4C51B
	v_add_f32_e32 v98, v28, v98                                // 000000007C80: 02C4C51C
	v_add_f32_e32 v98, v29, v98                                // 000000007C84: 02C4C51D
	v_add_f32_e32 v98, v30, v98                                // 000000007C88: 02C4C51E
	v_add_f32_e32 v98, v31, v98                                // 000000007C8C: 02C4C51F
	buffer_load_dwordx4 a[68:71], v113, s[16:19], 0 offen      // 000000007C90: E05C1000 80844471
	s_waitcnt lgkmcnt(0)                                       // 000000007C98: BF8CC07F
	v_sub_f32_e32 v92, v92, v96                                // 000000007C9C: 04B8C15C
	v_mul_f32_e32 v92, s46, v92                                // 000000007CA0: 0AB8B82E
	v_exp_f32_e32 v92, v92                                     // 000000007CA4: 7EB8415C
	s_nop 0                                                    // 000000007CA8: BF800000
	v_mul_f32_e32 v92, v69, v92                                // 000000007CAC: 0AB8B945
	v_add_f32_e32 v92, 0x3089705f, v92                         // 000000007CB0: 02B8B8FF 3089705F
	v_rcp_f32_e32 v92, v92                                     // 000000007CB8: 7EB8455C
	s_nop 0                                                    // 000000007CBC: BF800000
	v_mul_f32_e32 v92, 0x43700000, v92                         // 000000007CC0: 0AB8B8FF 43700000
	v_mov_b32_e32 v93, v92                                     // 000000007CC8: 7EBA035C
	v_pk_mul_f32 v[16:17], v[92:93], v[32:33]                  // 000000007CCC: D3B14010 1802415C
	v_pk_mul_f32 v[18:19], v[92:93], v[34:35]                  // 000000007CD4: D3B14012 1802455C
	v_pk_mul_f32 v[20:21], v[92:93], v[36:37]                  // 000000007CDC: D3B14014 1802495C
	v_pk_mul_f32 v[22:23], v[92:93], v[38:39]                  // 000000007CE4: D3B14016 18024D5C
	v_pk_mul_f32 v[24:25], v[92:93], v[40:41]                  // 000000007CEC: D3B14018 1802515C
	v_pk_mul_f32 v[26:27], v[92:93], v[42:43]                  // 000000007CF4: D3B1401A 1802555C
	v_pk_mul_f32 v[28:29], v[92:93], v[44:45]                  // 000000007CFC: D3B1401C 1802595C
	v_pk_mul_f32 v[30:31], v[92:93], v[46:47]                  // 000000007D04: D3B1401E 18025D5C
	v_cvt_pk_fp8_f32 v16, v16, v17                             // 000000007D0C: D2A20010 00022310
	v_cvt_pk_fp8_f32 v16, v18, v19 op_sel:[0,0,1]              // 000000007D14: D2A24010 00022712
	v_cvt_pk_fp8_f32 v17, v20, v21                             // 000000007D1C: D2A20011 00022B14
	v_cvt_pk_fp8_f32 v17, v22, v23 op_sel:[0,0,1]              // 000000007D24: D2A24011 00022F16
	v_cvt_pk_fp8_f32 v18, v24, v25                             // 000000007D2C: D2A20012 00023318
	v_cvt_pk_fp8_f32 v18, v26, v27 op_sel:[0,0,1]              // 000000007D34: D2A24012 0002371A
	v_cvt_pk_fp8_f32 v19, v28, v29                             // 000000007D3C: D2A20013 00023B1C
	v_cvt_pk_fp8_f32 v19, v30, v31 op_sel:[0,0,1]              // 000000007D44: D2A24013 00023F1E
	ds_write_b32 v130, v16 offset:2560                         // 000000007D4C: D81A0A00 00001082
	ds_write_b32 v130, v17 offset:3584                         // 000000007D54: D81A0E00 00001182
	ds_write_b32 v130, v18 offset:4608                         // 000000007D5C: D81A1200 00001282
	ds_write_b32 v130, v19 offset:5632                         // 000000007D64: D81A1600 00001382
	v_rcp_f32_e32 v70, v92                                     // 000000007D6C: 7E8C455C
	s_nop 0                                                    // 000000007D70: BF800000
	v_mov_b32_e32 v71, v70                                     // 000000007D74: 7E8E0346
	buffer_load_dwordx4 a[72:75], v114, s[16:19], 0 offen      // 000000007D78: E05C1000 80844872
	v_pk_add_f32 v[56:57], v[56:57], v[48:49]                  // 000000007D80: D3B24038 18026138
	v_pk_add_f32 v[58:59], v[58:59], v[50:51]                  // 000000007D88: D3B2403A 1802653A
	v_pk_add_f32 v[60:61], v[60:61], v[52:53]                  // 000000007D90: D3B2403C 1802693C
	v_pk_add_f32 v[62:63], v[62:63], v[54:55]                  // 000000007D98: D3B2403E 18026D3E
	s_waitcnt lgkmcnt(0)                                       // 000000007DA0: BF8CC07F
	s_barrier                                                  // 000000007DA4: BF8A0000
	ds_read_b128 v[16:19], v131 offset:2560                    // 000000007DA8: D9FE0A00 10000083
	ds_read_b128 v[20:23], v131 offset:3584                    // 000000007DB0: D9FE0E00 14000083
	ds_read_b128 v[24:27], v131 offset:4608                    // 000000007DB8: D9FE1200 18000083
	ds_read_b128 v[28:31], v131 offset:5632                    // 000000007DC0: D9FE1600 1C000083
	buffer_load_dwordx4 a[76:79], v115, s[16:19], 0 offen      // 000000007DC8: E05C1000 80844C73
	s_waitcnt vmcnt(14)                                        // 000000007DD0: BF8C0F7E
	v_lshrrev_b32_e32 v100, 4, v0                              // 000000007DD4: 20C80084
	v_lshlrev_b32_e32 v100, 4, v100                            // 000000007DD8: 24C8C884
	v_add_u32_e32 v72, s64, v100                               // 000000007DDC: 6890C840
	v_add_u32_e32 v72, 4, v72                                  // 000000007DE0: 68909084
	v_sub_i32 v72, v72, s62                                    // 000000007DE4: D29D0048 00007D48
	s_mov_b32 s54, 0                                           // 000000007DEC: BEB60080
	v_add_i32 v73, s54, v72                                    // 000000007DF0: D29C0049 00029036
	v_cmp_lt_i32_e64 vcc, v73, 4                               // 000000007DF8: D0C1006A 00010949
	v_min_u32_e32 v73, 4, v73                                  // 000000007E00: 1C929284
	v_lshlrev_b32_e32 v73, 3, v73                              // 000000007E04: 24929283
	v_lshrrev_b32_e64 v74, v73, -1                             // 000000007E08: D110004A 00018349
	v_accvgpr_read_b32 v75, a96                                // 000000007E10: D3D8404B 18000160
	v_cndmask_b32_e32 v75, 0, v75, vcc                         // 000000007E18: 00969680
	v_and_b32_e32 v75, v75, v74                                // 000000007E1C: 2696954B
	v_accvgpr_write_b32 a96, v75                               // 000000007E20: D3D94060 1800014B
	v_accvgpr_read_b32 v75, a112                               // 000000007E28: D3D8404B 18000170
	v_cndmask_b32_e32 v75, 0, v75, vcc                         // 000000007E30: 00969680
	v_and_b32_e32 v75, v75, v74                                // 000000007E34: 2696954B
	v_accvgpr_write_b32 a112, v75                              // 000000007E38: D3D94070 1800014B
	s_mov_b32 s54, 4                                           // 000000007E40: BEB60084
	v_add_i32 v73, s54, v72                                    // 000000007E44: D29C0049 00029036
	v_cmp_lt_i32_e64 vcc, v73, 4                               // 000000007E4C: D0C1006A 00010949
	v_min_u32_e32 v73, 4, v73                                  // 000000007E54: 1C929284
	v_lshlrev_b32_e32 v73, 3, v73                              // 000000007E58: 24929283
	v_lshrrev_b32_e64 v74, v73, -1                             // 000000007E5C: D110004A 00018349
	v_accvgpr_read_b32 v75, a97                                // 000000007E64: D3D8404B 18000161
	v_cndmask_b32_e32 v75, 0, v75, vcc                         // 000000007E6C: 00969680
	v_and_b32_e32 v75, v75, v74                                // 000000007E70: 2696954B
	v_accvgpr_write_b32 a97, v75                               // 000000007E74: D3D94061 1800014B
	v_accvgpr_read_b32 v75, a113                               // 000000007E7C: D3D8404B 18000171
	v_cndmask_b32_e32 v75, 0, v75, vcc                         // 000000007E84: 00969680
	v_and_b32_e32 v75, v75, v74                                // 000000007E88: 2696954B
	v_accvgpr_write_b32 a113, v75                              // 000000007E8C: D3D94071 1800014B
	s_mov_b32 s54, 8                                           // 000000007E94: BEB60088
	v_add_i32 v73, s54, v72                                    // 000000007E98: D29C0049 00029036
	v_cmp_lt_i32_e64 vcc, v73, 4                               // 000000007EA0: D0C1006A 00010949
	v_min_u32_e32 v73, 4, v73                                  // 000000007EA8: 1C929284
	v_lshlrev_b32_e32 v73, 3, v73                              // 000000007EAC: 24929283
	v_lshrrev_b32_e64 v74, v73, -1                             // 000000007EB0: D110004A 00018349
	v_accvgpr_read_b32 v75, a98                                // 000000007EB8: D3D8404B 18000162
	v_cndmask_b32_e32 v75, 0, v75, vcc                         // 000000007EC0: 00969680
	v_and_b32_e32 v75, v75, v74                                // 000000007EC4: 2696954B
	v_accvgpr_write_b32 a98, v75                               // 000000007EC8: D3D94062 1800014B
	v_accvgpr_read_b32 v75, a114                               // 000000007ED0: D3D8404B 18000172
	v_cndmask_b32_e32 v75, 0, v75, vcc                         // 000000007ED8: 00969680
	v_and_b32_e32 v75, v75, v74                                // 000000007EDC: 2696954B
	v_accvgpr_write_b32 a114, v75                              // 000000007EE0: D3D94072 1800014B
	s_mov_b32 s54, 12                                          // 000000007EE8: BEB6008C
	v_add_i32 v73, s54, v72                                    // 000000007EEC: D29C0049 00029036
	v_cmp_lt_i32_e64 vcc, v73, 4                               // 000000007EF4: D0C1006A 00010949
	v_min_u32_e32 v73, 4, v73                                  // 000000007EFC: 1C929284
	v_lshlrev_b32_e32 v73, 3, v73                              // 000000007F00: 24929283
	v_lshrrev_b32_e64 v74, v73, -1                             // 000000007F04: D110004A 00018349
	v_accvgpr_read_b32 v75, a99                                // 000000007F0C: D3D8404B 18000163
	v_cndmask_b32_e32 v75, 0, v75, vcc                         // 000000007F14: 00969680
	v_and_b32_e32 v75, v75, v74                                // 000000007F18: 2696954B
	v_accvgpr_write_b32 a99, v75                               // 000000007F1C: D3D94063 1800014B
	v_accvgpr_read_b32 v75, a115                               // 000000007F24: D3D8404B 18000173
	v_cndmask_b32_e32 v75, 0, v75, vcc                         // 000000007F2C: 00969680
	v_and_b32_e32 v75, v75, v74                                // 000000007F30: 2696954B
	v_accvgpr_write_b32 a115, v75                              // 000000007F34: D3D94073 1800014B
	s_mov_b32 s54, 64                                          // 000000007F3C: BEB600C0
	v_add_i32 v73, s54, v72                                    // 000000007F40: D29C0049 00029036
	v_cmp_lt_i32_e64 vcc, v73, 4                               // 000000007F48: D0C1006A 00010949
	v_min_u32_e32 v73, 4, v73                                  // 000000007F50: 1C929284
	v_lshlrev_b32_e32 v73, 3, v73                              // 000000007F54: 24929283
	v_lshrrev_b32_e64 v74, v73, -1                             // 000000007F58: D110004A 00018349
	v_accvgpr_read_b32 v75, a100                               // 000000007F60: D3D8404B 18000164
	v_cndmask_b32_e32 v75, 0, v75, vcc                         // 000000007F68: 00969680
	v_and_b32_e32 v75, v75, v74                                // 000000007F6C: 2696954B
	v_accvgpr_write_b32 a100, v75                              // 000000007F70: D3D94064 1800014B
	v_accvgpr_read_b32 v75, a116                               // 000000007F78: D3D8404B 18000174
	v_cndmask_b32_e32 v75, 0, v75, vcc                         // 000000007F80: 00969680
	v_and_b32_e32 v75, v75, v74                                // 000000007F84: 2696954B
	v_accvgpr_write_b32 a116, v75                              // 000000007F88: D3D94074 1800014B
	s_mov_b32 s54, 0x44                                        // 000000007F90: BEB600FF 00000044
	v_add_i32 v73, s54, v72                                    // 000000007F98: D29C0049 00029036
	v_cmp_lt_i32_e64 vcc, v73, 4                               // 000000007FA0: D0C1006A 00010949
	v_min_u32_e32 v73, 4, v73                                  // 000000007FA8: 1C929284
	v_lshlrev_b32_e32 v73, 3, v73                              // 000000007FAC: 24929283
	v_lshrrev_b32_e64 v74, v73, -1                             // 000000007FB0: D110004A 00018349
	v_accvgpr_read_b32 v75, a101                               // 000000007FB8: D3D8404B 18000165
	v_cndmask_b32_e32 v75, 0, v75, vcc                         // 000000007FC0: 00969680
	v_and_b32_e32 v75, v75, v74                                // 000000007FC4: 2696954B
	v_accvgpr_write_b32 a101, v75                              // 000000007FC8: D3D94065 1800014B
	v_accvgpr_read_b32 v75, a117                               // 000000007FD0: D3D8404B 18000175
	v_cndmask_b32_e32 v75, 0, v75, vcc                         // 000000007FD8: 00969680
	v_and_b32_e32 v75, v75, v74                                // 000000007FDC: 2696954B
	v_accvgpr_write_b32 a117, v75                              // 000000007FE0: D3D94075 1800014B
	s_mov_b32 s54, 0x48                                        // 000000007FE8: BEB600FF 00000048
	v_add_i32 v73, s54, v72                                    // 000000007FF0: D29C0049 00029036
	v_cmp_lt_i32_e64 vcc, v73, 4                               // 000000007FF8: D0C1006A 00010949
	v_min_u32_e32 v73, 4, v73                                  // 000000008000: 1C929284
	v_lshlrev_b32_e32 v73, 3, v73                              // 000000008004: 24929283
	v_lshrrev_b32_e64 v74, v73, -1                             // 000000008008: D110004A 00018349
	v_accvgpr_read_b32 v75, a102                               // 000000008010: D3D8404B 18000166
	v_cndmask_b32_e32 v75, 0, v75, vcc                         // 000000008018: 00969680
	v_and_b32_e32 v75, v75, v74                                // 00000000801C: 2696954B
	v_accvgpr_write_b32 a102, v75                              // 000000008020: D3D94066 1800014B
	v_accvgpr_read_b32 v75, a118                               // 000000008028: D3D8404B 18000176
	v_cndmask_b32_e32 v75, 0, v75, vcc                         // 000000008030: 00969680
	v_and_b32_e32 v75, v75, v74                                // 000000008034: 2696954B
	v_accvgpr_write_b32 a118, v75                              // 000000008038: D3D94076 1800014B
	s_mov_b32 s54, 0x4c                                        // 000000008040: BEB600FF 0000004C
	v_add_i32 v73, s54, v72                                    // 000000008048: D29C0049 00029036
	v_cmp_lt_i32_e64 vcc, v73, 4                               // 000000008050: D0C1006A 00010949
	v_min_u32_e32 v73, 4, v73                                  // 000000008058: 1C929284
	v_lshlrev_b32_e32 v73, 3, v73                              // 00000000805C: 24929283
	v_lshrrev_b32_e64 v74, v73, -1                             // 000000008060: D110004A 00018349
	v_accvgpr_read_b32 v75, a103                               // 000000008068: D3D8404B 18000167
	v_cndmask_b32_e32 v75, 0, v75, vcc                         // 000000008070: 00969680
	v_and_b32_e32 v75, v75, v74                                // 000000008074: 2696954B
	v_accvgpr_write_b32 a103, v75                              // 000000008078: D3D94067 1800014B
	v_accvgpr_read_b32 v75, a119                               // 000000008080: D3D8404B 18000177
	v_cndmask_b32_e32 v75, 0, v75, vcc                         // 000000008088: 00969680
	v_and_b32_e32 v75, v75, v74                                // 00000000808C: 2696954B
	v_accvgpr_write_b32 a119, v75                              // 000000008090: D3D94077 1800014B
	s_mov_b32 s54, 0x80                                        // 000000008098: BEB600FF 00000080
	v_add_i32 v73, s54, v72                                    // 0000000080A0: D29C0049 00029036
	v_cmp_lt_i32_e64 vcc, v73, 4                               // 0000000080A8: D0C1006A 00010949
	v_min_u32_e32 v73, 4, v73                                  // 0000000080B0: 1C929284
	v_lshlrev_b32_e32 v73, 3, v73                              // 0000000080B4: 24929283
	v_lshrrev_b32_e64 v74, v73, -1                             // 0000000080B8: D110004A 00018349
	v_accvgpr_read_b32 v75, a104                               // 0000000080C0: D3D8404B 18000168
	v_cndmask_b32_e32 v75, 0, v75, vcc                         // 0000000080C8: 00969680
	v_and_b32_e32 v75, v75, v74                                // 0000000080CC: 2696954B
	v_accvgpr_write_b32 a104, v75                              // 0000000080D0: D3D94068 1800014B
	v_accvgpr_read_b32 v75, a120                               // 0000000080D8: D3D8404B 18000178
	v_cndmask_b32_e32 v75, 0, v75, vcc                         // 0000000080E0: 00969680
	v_and_b32_e32 v75, v75, v74                                // 0000000080E4: 2696954B
	v_accvgpr_write_b32 a120, v75                              // 0000000080E8: D3D94078 1800014B
	s_mov_b32 s54, 0x84                                        // 0000000080F0: BEB600FF 00000084
	v_add_i32 v73, s54, v72                                    // 0000000080F8: D29C0049 00029036
	v_cmp_lt_i32_e64 vcc, v73, 4                               // 000000008100: D0C1006A 00010949
	v_min_u32_e32 v73, 4, v73                                  // 000000008108: 1C929284
	v_lshlrev_b32_e32 v73, 3, v73                              // 00000000810C: 24929283
	v_lshrrev_b32_e64 v74, v73, -1                             // 000000008110: D110004A 00018349
	v_accvgpr_read_b32 v75, a105                               // 000000008118: D3D8404B 18000169
	v_cndmask_b32_e32 v75, 0, v75, vcc                         // 000000008120: 00969680
	v_and_b32_e32 v75, v75, v74                                // 000000008124: 2696954B
	v_accvgpr_write_b32 a105, v75                              // 000000008128: D3D94069 1800014B
	v_accvgpr_read_b32 v75, a121                               // 000000008130: D3D8404B 18000179
	v_cndmask_b32_e32 v75, 0, v75, vcc                         // 000000008138: 00969680
	v_and_b32_e32 v75, v75, v74                                // 00000000813C: 2696954B
	v_accvgpr_write_b32 a121, v75                              // 000000008140: D3D94079 1800014B
	s_mov_b32 s54, 0x88                                        // 000000008148: BEB600FF 00000088
	v_add_i32 v73, s54, v72                                    // 000000008150: D29C0049 00029036
	v_cmp_lt_i32_e64 vcc, v73, 4                               // 000000008158: D0C1006A 00010949
	v_min_u32_e32 v73, 4, v73                                  // 000000008160: 1C929284
	v_lshlrev_b32_e32 v73, 3, v73                              // 000000008164: 24929283
	v_lshrrev_b32_e64 v74, v73, -1                             // 000000008168: D110004A 00018349
	v_accvgpr_read_b32 v75, a106                               // 000000008170: D3D8404B 1800016A
	v_cndmask_b32_e32 v75, 0, v75, vcc                         // 000000008178: 00969680
	v_and_b32_e32 v75, v75, v74                                // 00000000817C: 2696954B
	v_accvgpr_write_b32 a106, v75                              // 000000008180: D3D9406A 1800014B
	v_accvgpr_read_b32 v75, a122                               // 000000008188: D3D8404B 1800017A
	v_cndmask_b32_e32 v75, 0, v75, vcc                         // 000000008190: 00969680
	v_and_b32_e32 v75, v75, v74                                // 000000008194: 2696954B
	v_accvgpr_write_b32 a122, v75                              // 000000008198: D3D9407A 1800014B
	s_mov_b32 s54, 0x8c                                        // 0000000081A0: BEB600FF 0000008C
	v_add_i32 v73, s54, v72                                    // 0000000081A8: D29C0049 00029036
	v_cmp_lt_i32_e64 vcc, v73, 4                               // 0000000081B0: D0C1006A 00010949
	v_min_u32_e32 v73, 4, v73                                  // 0000000081B8: 1C929284
	v_lshlrev_b32_e32 v73, 3, v73                              // 0000000081BC: 24929283
	v_lshrrev_b32_e64 v74, v73, -1                             // 0000000081C0: D110004A 00018349
	v_accvgpr_read_b32 v75, a107                               // 0000000081C8: D3D8404B 1800016B
	v_cndmask_b32_e32 v75, 0, v75, vcc                         // 0000000081D0: 00969680
	v_and_b32_e32 v75, v75, v74                                // 0000000081D4: 2696954B
	v_accvgpr_write_b32 a107, v75                              // 0000000081D8: D3D9406B 1800014B
	v_accvgpr_read_b32 v75, a123                               // 0000000081E0: D3D8404B 1800017B
	v_cndmask_b32_e32 v75, 0, v75, vcc                         // 0000000081E8: 00969680
	v_and_b32_e32 v75, v75, v74                                // 0000000081EC: 2696954B
	v_accvgpr_write_b32 a123, v75                              // 0000000081F0: D3D9407B 1800014B
	s_mov_b32 s54, 0xc0                                        // 0000000081F8: BEB600FF 000000C0
	v_add_i32 v73, s54, v72                                    // 000000008200: D29C0049 00029036
	v_cmp_lt_i32_e64 vcc, v73, 4                               // 000000008208: D0C1006A 00010949
	v_min_u32_e32 v73, 4, v73                                  // 000000008210: 1C929284
	v_lshlrev_b32_e32 v73, 3, v73                              // 000000008214: 24929283
	v_lshrrev_b32_e64 v74, v73, -1                             // 000000008218: D110004A 00018349
	v_accvgpr_read_b32 v75, a108                               // 000000008220: D3D8404B 1800016C
	v_cndmask_b32_e32 v75, 0, v75, vcc                         // 000000008228: 00969680
	v_and_b32_e32 v75, v75, v74                                // 00000000822C: 2696954B
	v_accvgpr_write_b32 a108, v75                              // 000000008230: D3D9406C 1800014B
	v_accvgpr_read_b32 v75, a124                               // 000000008238: D3D8404B 1800017C
	v_cndmask_b32_e32 v75, 0, v75, vcc                         // 000000008240: 00969680
	v_and_b32_e32 v75, v75, v74                                // 000000008244: 2696954B
	v_accvgpr_write_b32 a124, v75                              // 000000008248: D3D9407C 1800014B
	s_mov_b32 s54, 0xc4                                        // 000000008250: BEB600FF 000000C4
	v_add_i32 v73, s54, v72                                    // 000000008258: D29C0049 00029036
	v_cmp_lt_i32_e64 vcc, v73, 4                               // 000000008260: D0C1006A 00010949
	v_min_u32_e32 v73, 4, v73                                  // 000000008268: 1C929284
	v_lshlrev_b32_e32 v73, 3, v73                              // 00000000826C: 24929283
	v_lshrrev_b32_e64 v74, v73, -1                             // 000000008270: D110004A 00018349
	v_accvgpr_read_b32 v75, a109                               // 000000008278: D3D8404B 1800016D
	v_cndmask_b32_e32 v75, 0, v75, vcc                         // 000000008280: 00969680
	v_and_b32_e32 v75, v75, v74                                // 000000008284: 2696954B
	v_accvgpr_write_b32 a109, v75                              // 000000008288: D3D9406D 1800014B
	v_accvgpr_read_b32 v75, a125                               // 000000008290: D3D8404B 1800017D
	v_cndmask_b32_e32 v75, 0, v75, vcc                         // 000000008298: 00969680
	v_and_b32_e32 v75, v75, v74                                // 00000000829C: 2696954B
	v_accvgpr_write_b32 a125, v75                              // 0000000082A0: D3D9407D 1800014B
	s_mov_b32 s54, 0xc8                                        // 0000000082A8: BEB600FF 000000C8
	v_add_i32 v73, s54, v72                                    // 0000000082B0: D29C0049 00029036
	v_cmp_lt_i32_e64 vcc, v73, 4                               // 0000000082B8: D0C1006A 00010949
	v_min_u32_e32 v73, 4, v73                                  // 0000000082C0: 1C929284
	v_lshlrev_b32_e32 v73, 3, v73                              // 0000000082C4: 24929283
	v_lshrrev_b32_e64 v74, v73, -1                             // 0000000082C8: D110004A 00018349
	v_accvgpr_read_b32 v75, a110                               // 0000000082D0: D3D8404B 1800016E
	v_cndmask_b32_e32 v75, 0, v75, vcc                         // 0000000082D8: 00969680
	v_and_b32_e32 v75, v75, v74                                // 0000000082DC: 2696954B
	v_accvgpr_write_b32 a110, v75                              // 0000000082E0: D3D9406E 1800014B
	v_accvgpr_read_b32 v75, a126                               // 0000000082E8: D3D8404B 1800017E
	v_cndmask_b32_e32 v75, 0, v75, vcc                         // 0000000082F0: 00969680
	v_and_b32_e32 v75, v75, v74                                // 0000000082F4: 2696954B
	v_accvgpr_write_b32 a126, v75                              // 0000000082F8: D3D9407E 1800014B
	s_mov_b32 s54, 0xcc                                        // 000000008300: BEB600FF 000000CC
	v_add_i32 v73, s54, v72                                    // 000000008308: D29C0049 00029036
	v_cmp_lt_i32_e64 vcc, v73, 4                               // 000000008310: D0C1006A 00010949
	v_min_u32_e32 v73, 4, v73                                  // 000000008318: 1C929284
	v_lshlrev_b32_e32 v73, 3, v73                              // 00000000831C: 24929283
	v_lshrrev_b32_e64 v74, v73, -1                             // 000000008320: D110004A 00018349
	v_accvgpr_read_b32 v75, a111                               // 000000008328: D3D8404B 1800016F
	v_cndmask_b32_e32 v75, 0, v75, vcc                         // 000000008330: 00969680
	v_and_b32_e32 v75, v75, v74                                // 000000008334: 2696954B
	v_accvgpr_write_b32 a111, v75                              // 000000008338: D3D9406F 1800014B
	v_accvgpr_read_b32 v75, a127                               // 000000008340: D3D8404B 1800017F
	v_cndmask_b32_e32 v75, 0, v75, vcc                         // 000000008348: 00969680
	v_and_b32_e32 v75, v75, v74                                // 00000000834C: 2696954B
	v_accvgpr_write_b32 a127, v75                              // 000000008350: D3D9407F 1800014B
	s_waitcnt lgkmcnt(3)                                       // 000000008358: BF8CC37F
	v_mfma_f32_16x16x32_fp8_fp8 v[48:51], a[96:97], v[16:17], 0// 00000000835C: D3F30030 0A022160
	v_mfma_f32_16x16x32_fp8_fp8 v[52:55], a[112:113], v[16:17], 0// 000000008364: D3F30034 0A022170
	v_mfma_f32_16x16x32_fp8_fp8 v[48:51], a[98:99], v[18:19], v[48:51]// 00000000836C: D3F30030 0CC22562
	buffer_load_dwordx4 a[80:83], v112, s[16:19], 0 offen offset:1024// 000000008374: E05C1400 80845070
	v_mfma_f32_16x16x32_fp8_fp8 v[52:55], a[114:115], v[18:19], v[52:55]// 00000000837C: D3F30034 0CD22572
	s_waitcnt lgkmcnt(2)                                       // 000000008384: BF8CC27F
	v_mfma_f32_16x16x32_fp8_fp8 v[48:51], a[100:101], v[20:21], v[48:51]// 000000008388: D3F30030 0CC22964
	v_mfma_f32_16x16x32_fp8_fp8 v[52:55], a[116:117], v[20:21], v[52:55]// 000000008390: D3F30034 0CD22974
	v_mfma_f32_16x16x32_fp8_fp8 v[48:51], a[102:103], v[22:23], v[48:51]// 000000008398: D3F30030 0CC22D66
	buffer_load_dwordx4 a[84:87], v113, s[16:19], 0 offen offset:1024// 0000000083A0: E05C1400 80845471
	v_mfma_f32_16x16x32_fp8_fp8 v[52:55], a[118:119], v[22:23], v[52:55]// 0000000083A8: D3F30034 0CD22D76
	s_waitcnt lgkmcnt(1)                                       // 0000000083B0: BF8CC17F
	v_mfma_f32_16x16x32_fp8_fp8 v[48:51], a[104:105], v[24:25], v[48:51]// 0000000083B4: D3F30030 0CC23168
	v_mfma_f32_16x16x32_fp8_fp8 v[52:55], a[120:121], v[24:25], v[52:55]// 0000000083BC: D3F30034 0CD23178
	v_mfma_f32_16x16x32_fp8_fp8 v[48:51], a[106:107], v[26:27], v[48:51]// 0000000083C4: D3F30030 0CC2356A
	buffer_load_dwordx4 a[88:91], v114, s[16:19], 0 offen offset:1024// 0000000083CC: E05C1400 80845872
	v_mfma_f32_16x16x32_fp8_fp8 v[52:55], a[122:123], v[26:27], v[52:55]// 0000000083D4: D3F30034 0CD2357A
	s_waitcnt lgkmcnt(0)                                       // 0000000083DC: BF8CC07F
	v_mfma_f32_16x16x32_fp8_fp8 v[48:51], a[108:109], v[28:29], v[48:51]// 0000000083E0: D3F30030 0CC2396C
	v_mfma_f32_16x16x32_fp8_fp8 v[52:55], a[124:125], v[28:29], v[52:55]// 0000000083E8: D3F30034 0CD2397C
	v_mfma_f32_16x16x32_fp8_fp8 v[48:51], a[110:111], v[30:31], v[48:51]// 0000000083F0: D3F30030 0CC23D6E
	buffer_load_dwordx4 a[92:95], v115, s[16:19], 0 offen offset:1024// 0000000083F8: E05C1400 80845C73
	v_mfma_f32_16x16x32_fp8_fp8 v[52:55], a[126:127], v[30:31], v[52:55]// 000000008400: D3F30034 0CD23D7E
	s_addk_i32 s64, 0x100                                      // 000000008408: B7400100

000000000000840c <label_1783>:
	s_cmp_lt_i32 s64, s62                                      // 00000000840C: BF043E40
	s_cbranch_scc0 label_1EF1                                  // 000000008410: BF84076C
	s_waitcnt vmcnt(10)                                        // 000000008414: BF8C0F7A
	v_mfma_f32_16x16x32_fp8_fp8 v[16:19], a[0:1], v[8:9], 0    // 000000008418: D3F30010 0A021100
	s_add_u32 s12, s86, s69                                    // 000000008420: 800C4556
	s_addc_u32 s13, s87, 0                                     // 000000008424: 820D8057
	v_mfma_f32_16x16x32_fp8_fp8 v[16:19], a[2:3], v[10:11], v[16:19]// 000000008428: D3F30010 0C421502
	s_add_u32 s16, s88, s70                                    // 000000008430: 80104658
	s_addc_u32 s17, s89, 0                                     // 000000008434: 82118059
	v_mfma_f32_16x16x32_fp8_fp8 v[16:19], a[4:5], v[12:13], v[16:19]// 000000008438: D3F30010 0C421904
	buffer_load_dwordx4 a[32:35], v110, s[12:15], 0 offen      // 000000008440: E05C1000 8083206E
	v_mfma_f32_16x16x32_fp8_fp8 v[16:19], a[6:7], v[14:15], v[16:19]// 000000008448: D3F30010 0C421D06
	s_add_u32 s20, s90, s71                                    // 000000008450: 8014475A
	s_addc_u32 s21, s91, 0                                     // 000000008454: 8215805B
	v_mfma_f32_16x16x32_fp8_fp8 v[20:23], a[8:9], v[8:9], 0    // 000000008458: D3F30014 0A021108
	s_add_u32 s24, s92, s71                                    // 000000008460: 8018475C
	s_addc_u32 s25, s93, 0                                     // 000000008464: 8219805D
	v_mfma_f32_16x16x32_fp8_fp8 v[20:23], a[10:11], v[10:11], v[20:23]// 000000008468: D3F30014 0C52150A
	s_mul_i32 s69, s59, s50                                    // 000000008470: 9245323B
	s_mul_i32 s71, s59, s66                                    // 000000008474: 9247423B
	v_mfma_f32_16x16x32_fp8_fp8 v[20:23], a[12:13], v[12:13], v[20:23]// 000000008478: D3F30014 0C52190C
	buffer_load_dwordx4 a[36:39], v111, s[12:15], 0 offen      // 000000008480: E05C1000 8083246F
	v_mfma_f32_16x16x32_fp8_fp8 v[20:23], a[14:15], v[14:15], v[20:23]// 000000008488: D3F30014 0C521D0E
	s_mul_i32 s54, s78, s51                                    // 000000008490: 9236334E
	s_add_u32 s69, s69, s54                                    // 000000008494: 80453645
	v_mfma_f32_16x16x32_fp8_fp8 v[24:27], a[16:17], v[8:9], 0  // 000000008498: D3F30018 0A021110
	s_mov_b32 s70, s69                                         // 0000000084A0: BEC60045
	v_mfma_f32_16x16x32_fp8_fp8 v[24:27], a[18:19], v[10:11], v[24:27]// 0000000084A4: D3F30018 0C621512
	s_mul_i32 s54, s78, 4                                      // 0000000084AC: 9236844E
	s_add_u32 s71, s71, s54                                    // 0000000084B0: 80473647
	v_mfma_f32_16x16x32_fp8_fp8 v[24:27], a[20:21], v[12:13], v[24:27]// 0000000084B4: D3F30018 0C621914
	buffer_load_dwordx4 a[40:43], v110, s[12:15], 0 offen offset:1024// 0000000084BC: E05C1400 8083286E
	v_mfma_f32_16x16x32_fp8_fp8 v[24:27], a[22:23], v[14:15], v[24:27]// 0000000084C4: D3F30018 0C621D16
	v_mfma_f32_16x16x32_fp8_fp8 v[28:31], a[24:25], v[8:9], 0  // 0000000084CC: D3F3001C 0A021118
	v_mfma_f32_16x16x32_fp8_fp8 v[28:31], a[26:27], v[10:11], v[28:31]// 0000000084D4: D3F3001C 0C72151A
	v_mfma_f32_16x16x32_fp8_fp8 v[28:31], a[28:29], v[12:13], v[28:31]// 0000000084DC: D3F3001C 0C72191C
	buffer_load_dwordx4 a[44:47], v111, s[12:15], 0 offen offset:1024// 0000000084E4: E05C1400 80832C6F
	v_mfma_f32_16x16x32_fp8_fp8 v[28:31], a[30:31], v[14:15], v[28:31]// 0000000084EC: D3F3001C 0C721D1E
	s_waitcnt vmcnt(12)                                        // 0000000084F4: BF8C0F7C
	v_pk_mul_f32 v[16:17], v[64:65], v[16:17]                  // 0000000084F8: D3B14010 18022140
	v_pk_mul_f32 v[18:19], v[64:65], v[18:19]                  // 000000008500: D3B14012 18022540
	v_mul_f32_dpp v16, v66, v16 row_newbcast:0 row_mask:0xf bank_mask:0xf// 000000008508: 0A2020FA FF015042
	v_mul_f32_dpp v17, v66, v17 row_newbcast:1 row_mask:0xf bank_mask:0xf// 000000008510: 0A2222FA FF015142
	v_mul_f32_dpp v18, v66, v18 row_newbcast:2 row_mask:0xf bank_mask:0xf// 000000008518: 0A2424FA FF015242
	v_mul_f32_dpp v19, v66, v19 row_newbcast:3 row_mask:0xf bank_mask:0xf// 000000008520: 0A2626FA FF015342
	v_pk_mul_f32 v[20:21], v[64:65], v[20:21]                  // 000000008528: D3B14014 18022940
	v_pk_mul_f32 v[22:23], v[64:65], v[22:23]                  // 000000008530: D3B14016 18022D40
	v_mul_f32_dpp v20, v66, v20 row_newbcast:4 row_mask:0xf bank_mask:0xf// 000000008538: 0A2828FA FF015442
	v_mul_f32_dpp v21, v66, v21 row_newbcast:5 row_mask:0xf bank_mask:0xf// 000000008540: 0A2A2AFA FF015542
	v_mul_f32_dpp v22, v66, v22 row_newbcast:6 row_mask:0xf bank_mask:0xf// 000000008548: 0A2C2CFA FF015642
	v_mul_f32_dpp v23, v66, v23 row_newbcast:7 row_mask:0xf bank_mask:0xf// 000000008550: 0A2E2EFA FF015742
	v_pk_mul_f32 v[24:25], v[64:65], v[24:25]                  // 000000008558: D3B14018 18023140
	v_pk_mul_f32 v[26:27], v[64:65], v[26:27]                  // 000000008560: D3B1401A 18023540
	v_mul_f32_dpp v24, v66, v24 row_newbcast:8 row_mask:0xf bank_mask:0xf// 000000008568: 0A3030FA FF015842
	v_mul_f32_dpp v25, v66, v25 row_newbcast:9 row_mask:0xf bank_mask:0xf// 000000008570: 0A3232FA FF015942
	v_mul_f32_dpp v26, v66, v26 row_newbcast:10 row_mask:0xf bank_mask:0xf// 000000008578: 0A3434FA FF015A42
	v_mul_f32_dpp v27, v66, v27 row_newbcast:11 row_mask:0xf bank_mask:0xf// 000000008580: 0A3636FA FF015B42
	v_pk_mul_f32 v[28:29], v[64:65], v[28:29]                  // 000000008588: D3B1401C 18023940
	v_pk_mul_f32 v[30:31], v[64:65], v[30:31]                  // 000000008590: D3B1401E 18023D40
	v_mul_f32_dpp v28, v66, v28 row_newbcast:12 row_mask:0xf bank_mask:0xf// 000000008598: 0A3838FA FF015C42
	v_mul_f32_dpp v29, v66, v29 row_newbcast:13 row_mask:0xf bank_mask:0xf// 0000000085A0: 0A3A3AFA FF015D42
	v_mul_f32_dpp v30, v66, v30 row_newbcast:14 row_mask:0xf bank_mask:0xf// 0000000085A8: 0A3C3CFA FF015E42
	v_mul_f32_dpp v31, v66, v31 row_newbcast:15 row_mask:0xf bank_mask:0xf// 0000000085B0: 0A3E3EFA FF015F42
	buffer_load_dwordx4 a[48:51], v110, s[12:15], 0 offen offset:2048// 0000000085B8: E05C1800 8083306E
	v_add_u32_e32 v72, s64, v106                               // 0000000085C0: 6890D440
	v_add_u32_e32 v73, 0, v72                                  // 0000000085C4: 68929080
	v_cmp_lt_u32_e64 s[98:99], v73, v105                       // 0000000085C8: D0C90062 0002D349
	s_nop 0                                                    // 0000000085D0: BF800000
	v_cndmask_b32_e64 v16, v107, v16, s[98:99]                 // 0000000085D4: D1000010 018A216B
	v_add_u32_e32 v73, 1, v72                                  // 0000000085DC: 68929081
	v_cmp_lt_u32_e64 s[98:99], v73, v105                       // 0000000085E0: D0C90062 0002D349
	s_nop 0                                                    // 0000000085E8: BF800000
	v_cndmask_b32_e64 v17, v107, v17, s[98:99]                 // 0000000085EC: D1000011 018A236B
	v_add_u32_e32 v73, 2, v72                                  // 0000000085F4: 68929082
	v_cmp_lt_u32_e64 s[98:99], v73, v105                       // 0000000085F8: D0C90062 0002D349
	s_nop 0                                                    // 000000008600: BF800000
	v_cndmask_b32_e64 v18, v107, v18, s[98:99]                 // 000000008604: D1000012 018A256B
	v_add_u32_e32 v73, 3, v72                                  // 00000000860C: 68929083
	v_cmp_lt_u32_e64 s[98:99], v73, v105                       // 000000008610: D0C90062 0002D349
	s_nop 0                                                    // 000000008618: BF800000
	v_cndmask_b32_e64 v19, v107, v19, s[98:99]                 // 00000000861C: D1000013 018A276B
	v_add_u32_e32 v73, 64, v72                                 // 000000008624: 689290C0
	v_cmp_lt_u32_e64 s[98:99], v73, v105                       // 000000008628: D0C90062 0002D349
	s_nop 0                                                    // 000000008630: BF800000
	v_cndmask_b32_e64 v20, v107, v20, s[98:99]                 // 000000008634: D1000014 018A296B
	v_add_u32_e32 v73, 0x41, v72                               // 00000000863C: 689290FF 00000041
	v_cmp_lt_u32_e64 s[98:99], v73, v105                       // 000000008644: D0C90062 0002D349
	s_nop 0                                                    // 00000000864C: BF800000
	v_cndmask_b32_e64 v21, v107, v21, s[98:99]                 // 000000008650: D1000015 018A2B6B
	v_add_u32_e32 v73, 0x42, v72                               // 000000008658: 689290FF 00000042
	v_cmp_lt_u32_e64 s[98:99], v73, v105                       // 000000008660: D0C90062 0002D349
	s_nop 0                                                    // 000000008668: BF800000
	v_cndmask_b32_e64 v22, v107, v22, s[98:99]                 // 00000000866C: D1000016 018A2D6B
	v_add_u32_e32 v73, 0x43, v72                               // 000000008674: 689290FF 00000043
	v_cmp_lt_u32_e64 s[98:99], v73, v105                       // 00000000867C: D0C90062 0002D349
	s_nop 0                                                    // 000000008684: BF800000
	v_cndmask_b32_e64 v23, v107, v23, s[98:99]                 // 000000008688: D1000017 018A2F6B
	v_add_u32_e32 v73, 0x80, v72                               // 000000008690: 689290FF 00000080
	v_cmp_lt_u32_e64 s[98:99], v73, v105                       // 000000008698: D0C90062 0002D349
	s_nop 0                                                    // 0000000086A0: BF800000
	v_cndmask_b32_e64 v24, v107, v24, s[98:99]                 // 0000000086A4: D1000018 018A316B
	v_add_u32_e32 v73, 0x81, v72                               // 0000000086AC: 689290FF 00000081
	v_cmp_lt_u32_e64 s[98:99], v73, v105                       // 0000000086B4: D0C90062 0002D349
	s_nop 0                                                    // 0000000086BC: BF800000
	v_cndmask_b32_e64 v25, v107, v25, s[98:99]                 // 0000000086C0: D1000019 018A336B
	v_add_u32_e32 v73, 0x82, v72                               // 0000000086C8: 689290FF 00000082
	v_cmp_lt_u32_e64 s[98:99], v73, v105                       // 0000000086D0: D0C90062 0002D349
	s_nop 0                                                    // 0000000086D8: BF800000
	v_cndmask_b32_e64 v26, v107, v26, s[98:99]                 // 0000000086DC: D100001A 018A356B
	v_add_u32_e32 v73, 0x83, v72                               // 0000000086E4: 689290FF 00000083
	v_cmp_lt_u32_e64 s[98:99], v73, v105                       // 0000000086EC: D0C90062 0002D349
	s_nop 0                                                    // 0000000086F4: BF800000
	v_cndmask_b32_e64 v27, v107, v27, s[98:99]                 // 0000000086F8: D100001B 018A376B
	v_add_u32_e32 v73, 0xc0, v72                               // 000000008700: 689290FF 000000C0
	v_cmp_lt_u32_e64 s[98:99], v73, v105                       // 000000008708: D0C90062 0002D349
	s_nop 0                                                    // 000000008710: BF800000
	v_cndmask_b32_e64 v28, v107, v28, s[98:99]                 // 000000008714: D100001C 018A396B
	v_add_u32_e32 v73, 0xc1, v72                               // 00000000871C: 689290FF 000000C1
	v_cmp_lt_u32_e64 s[98:99], v73, v105                       // 000000008724: D0C90062 0002D349
	s_nop 0                                                    // 00000000872C: BF800000
	v_cndmask_b32_e64 v29, v107, v29, s[98:99]                 // 000000008730: D100001D 018A3B6B
	v_add_u32_e32 v73, 0xc2, v72                               // 000000008738: 689290FF 000000C2
	v_cmp_lt_u32_e64 s[98:99], v73, v105                       // 000000008740: D0C90062 0002D349
	s_nop 0                                                    // 000000008748: BF800000
	v_cndmask_b32_e64 v30, v107, v30, s[98:99]                 // 00000000874C: D100001E 018A3D6B
	v_add_u32_e32 v73, 0xc3, v72                               // 000000008754: 689290FF 000000C3
	v_cmp_lt_u32_e64 s[98:99], v73, v105                       // 00000000875C: D0C90062 0002D349
	s_nop 0                                                    // 000000008764: BF800000
	v_cndmask_b32_e64 v31, v107, v31, s[98:99]                 // 000000008768: D100001F 018A3F6B
	v_mov_b32_e32 v92, v16                                     // 000000008770: 7EB80310
	v_max3_f32 v92, v16, v17, v92                              // 000000008774: D1D3005C 05722310
	v_max3_f32 v92, v18, v19, v92                              // 00000000877C: D1D3005C 05722712
	v_max3_f32 v92, v20, v21, v92                              // 000000008784: D1D3005C 05722B14
	v_max3_f32 v92, v22, v23, v92                              // 00000000878C: D1D3005C 05722F16
	v_max3_f32 v92, v24, v25, v92                              // 000000008794: D1D3005C 05723318
	v_max3_f32 v92, v26, v27, v92                              // 00000000879C: D1D3005C 0572371A
	v_max3_f32 v92, v28, v29, v92                              // 0000000087A4: D1D3005C 05723B1C
	v_max3_f32 v92, v30, v31, v92                              // 0000000087AC: D1D3005C 05723F1E
	ds_write_b32 v128, v92                                     // 0000000087B4: D81A0000 00005C80
	v_pk_mul_f32 v[56:57], v[94:95], v[56:57]                  // 0000000087BC: D3B14038 1802715E
	v_pk_mul_f32 v[58:59], v[94:95], v[58:59]                  // 0000000087C4: D3B1403A 1802755E
	v_pk_mul_f32 v[60:61], v[94:95], v[60:61]                  // 0000000087CC: D3B1403C 1802795E
	v_pk_mul_f32 v[62:63], v[94:95], v[62:63]                  // 0000000087D4: D3B1403E 18027D5E
	buffer_load_dwordx4 a[52:55], v111, s[12:15], 0 offen offset:2048// 0000000087DC: E05C1800 8083346F
	s_waitcnt lgkmcnt(0)                                       // 0000000087E4: BF8CC07F
	s_barrier                                                  // 0000000087E8: BF8A0000
	ds_read_b32 v76, v129                                      // 0000000087EC: D86C0000 4C000081
	ds_read_b32 v77, v129 offset:64                            // 0000000087F4: D86C0040 4D000081
	ds_read_b32 v78, v129 offset:128                           // 0000000087FC: D86C0080 4E000081
	ds_read_b32 v79, v129 offset:192                           // 000000008804: D86C00C0 4F000081
	ds_read_b32 v80, v129 offset:256                           // 00000000880C: D86C0100 50000081
	ds_read_b32 v81, v129 offset:320                           // 000000008814: D86C0140 51000081
	ds_read_b32 v82, v129 offset:384                           // 00000000881C: D86C0180 52000081
	ds_read_b32 v83, v129 offset:448                           // 000000008824: D86C01C0 53000081
	ds_read_b32 v84, v129 offset:512                           // 00000000882C: D86C0200 54000081
	ds_read_b32 v85, v129 offset:576                           // 000000008834: D86C0240 55000081
	ds_read_b32 v86, v129 offset:640                           // 00000000883C: D86C0280 56000081
	ds_read_b32 v87, v129 offset:704                           // 000000008844: D86C02C0 57000081
	ds_read_b32 v88, v129 offset:768                           // 00000000884C: D86C0300 58000081
	ds_read_b32 v89, v129 offset:832                           // 000000008854: D86C0340 59000081
	ds_read_b32 v90, v129 offset:896                           // 00000000885C: D86C0380 5A000081
	ds_read_b32 v91, v129 offset:960                           // 000000008864: D86C03C0 5B000081
	buffer_load_dwordx4 a[60:63], v111, s[12:15], 0 offen offset:3072// 00000000886C: E05C1C00 80833C6F
	v_pk_mul_f32 v[48:49], v[70:71], v[48:49]                  // 000000008874: D3B14030 18026146
	v_pk_mul_f32 v[50:51], v[70:71], v[50:51]                  // 00000000887C: D3B14032 18026546
	v_pk_mul_f32 v[52:53], v[70:71], v[52:53]                  // 000000008884: D3B14034 18026946
	v_pk_mul_f32 v[54:55], v[70:71], v[54:55]                  // 00000000888C: D3B14036 18026D46
	buffer_load_dwordx4 a[56:59], v110, s[12:15], 0 offen offset:3072// 000000008894: E05C1C00 8083386E
	s_waitcnt lgkmcnt(0)                                       // 00000000889C: BF8CC07F
	v_max3_f32 v92, v76, v77, v92                              // 0000000088A0: D1D3005C 05729B4C
	v_max3_f32 v92, v78, v79, v92                              // 0000000088A8: D1D3005C 05729F4E
	v_max3_f32 v92, v80, v81, v92                              // 0000000088B0: D1D3005C 0572A350
	v_max3_f32 v92, v82, v83, v92                              // 0000000088B8: D1D3005C 0572A752
	v_max3_f32 v92, v84, v85, v92                              // 0000000088C0: D1D3005C 0572AB54
	v_max3_f32 v92, v86, v87, v92                              // 0000000088C8: D1D3005C 0572AF56
	v_max3_f32 v92, v88, v89, v92                              // 0000000088D0: D1D3005C 0572B358
	v_max3_f32 v92, v90, v91, v92                              // 0000000088D8: D1D3005C 0572B75A
	v_max_f32_e32 v97, v92, v96                                // 0000000088E0: 16C2C15C
	v_mul_f32_e64 v72, -s46, v97                               // 0000000088E4: D1050048 2002C22E
	v_mov_b32_e32 v73, v72                                     // 0000000088EC: 7E920348
	v_pk_fma_f32 v[16:17], v[16:17], s[46:47], v[72:73]        // 0000000088F0: D3B04010 1D205D10
	v_pk_fma_f32 v[18:19], v[18:19], s[46:47], v[72:73]        // 0000000088F8: D3B04012 1D205D12
	v_exp_f32_e32 v16, v16                                     // 000000008900: 7E204110
	v_exp_f32_e32 v17, v17                                     // 000000008904: 7E224111
	v_exp_f32_e32 v18, v18                                     // 000000008908: 7E244112
	v_exp_f32_e32 v19, v19                                     // 00000000890C: 7E264113
	v_pk_fma_f32 v[20:21], v[20:21], s[46:47], v[72:73]        // 000000008910: D3B04014 1D205D14
	v_pk_fma_f32 v[22:23], v[22:23], s[46:47], v[72:73]        // 000000008918: D3B04016 1D205D16
	v_exp_f32_e32 v20, v20                                     // 000000008920: 7E284114
	v_exp_f32_e32 v21, v21                                     // 000000008924: 7E2A4115
	v_exp_f32_e32 v22, v22                                     // 000000008928: 7E2C4116
	v_exp_f32_e32 v23, v23                                     // 00000000892C: 7E2E4117
	v_pk_fma_f32 v[24:25], v[24:25], s[46:47], v[72:73]        // 000000008930: D3B04018 1D205D18
	v_pk_fma_f32 v[26:27], v[26:27], s[46:47], v[72:73]        // 000000008938: D3B0401A 1D205D1A
	v_exp_f32_e32 v24, v24                                     // 000000008940: 7E304118
	v_exp_f32_e32 v25, v25                                     // 000000008944: 7E324119
	v_exp_f32_e32 v26, v26                                     // 000000008948: 7E34411A
	v_exp_f32_e32 v27, v27                                     // 00000000894C: 7E36411B
	v_pk_fma_f32 v[28:29], v[28:29], s[46:47], v[72:73]        // 000000008950: D3B0401C 1D205D1C
	v_pk_fma_f32 v[30:31], v[30:31], s[46:47], v[72:73]        // 000000008958: D3B0401E 1D205D1E
	v_exp_f32_e32 v28, v28                                     // 000000008960: 7E38411C
	v_exp_f32_e32 v29, v29                                     // 000000008964: 7E3A411D
	v_exp_f32_e32 v30, v30                                     // 000000008968: 7E3C411E
	v_exp_f32_e32 v31, v31                                     // 00000000896C: 7E3E411F
	v_mul_f32_dpp v32, v68, v16 row_newbcast:0 row_mask:0xf bank_mask:0xf// 000000008970: 0A4020FA FF015044
	v_mul_f32_dpp v33, v68, v17 row_newbcast:1 row_mask:0xf bank_mask:0xf// 000000008978: 0A4222FA FF015144
	v_mul_f32_dpp v34, v68, v18 row_newbcast:2 row_mask:0xf bank_mask:0xf// 000000008980: 0A4424FA FF015244
	v_mul_f32_dpp v35, v68, v19 row_newbcast:3 row_mask:0xf bank_mask:0xf// 000000008988: 0A4626FA FF015344
	v_mul_f32_dpp v36, v68, v20 row_newbcast:4 row_mask:0xf bank_mask:0xf// 000000008990: 0A4828FA FF015444
	v_mul_f32_dpp v37, v68, v21 row_newbcast:5 row_mask:0xf bank_mask:0xf// 000000008998: 0A4A2AFA FF015544
	v_mul_f32_dpp v38, v68, v22 row_newbcast:6 row_mask:0xf bank_mask:0xf// 0000000089A0: 0A4C2CFA FF015644
	v_mul_f32_dpp v39, v68, v23 row_newbcast:7 row_mask:0xf bank_mask:0xf// 0000000089A8: 0A4E2EFA FF015744
	v_mul_f32_dpp v40, v68, v24 row_newbcast:8 row_mask:0xf bank_mask:0xf// 0000000089B0: 0A5030FA FF015844
	v_mul_f32_dpp v41, v68, v25 row_newbcast:9 row_mask:0xf bank_mask:0xf// 0000000089B8: 0A5232FA FF015944
	v_mul_f32_dpp v42, v68, v26 row_newbcast:10 row_mask:0xf bank_mask:0xf// 0000000089C0: 0A5434FA FF015A44
	v_mul_f32_dpp v43, v68, v27 row_newbcast:11 row_mask:0xf bank_mask:0xf// 0000000089C8: 0A5636FA FF015B44
	v_mul_f32_dpp v44, v68, v28 row_newbcast:12 row_mask:0xf bank_mask:0xf// 0000000089D0: 0A5838FA FF015C44
	v_mul_f32_dpp v45, v68, v29 row_newbcast:13 row_mask:0xf bank_mask:0xf// 0000000089D8: 0A5A3AFA FF015D44
	v_mul_f32_dpp v46, v68, v30 row_newbcast:14 row_mask:0xf bank_mask:0xf// 0000000089E0: 0A5C3CFA FF015E44
	v_mul_f32_dpp v47, v68, v31 row_newbcast:15 row_mask:0xf bank_mask:0xf// 0000000089E8: 0A5E3EFA FF015F44
	v_add_u32_e32 v72, s64, v106                               // 0000000089F0: 6890D440
	v_add_u32_e32 v73, 0, v72                                  // 0000000089F4: 68929080
	v_cmp_lt_u32_e32 vcc, v73, v105                            // 0000000089F8: 7D92D349
	v_cndmask_b32_e32 v32, 0, v32, vcc                         // 0000000089FC: 00404080
	v_add_u32_e32 v73, 1, v72                                  // 000000008A00: 68929081
	v_cmp_lt_u32_e32 vcc, v73, v105                            // 000000008A04: 7D92D349
	v_cndmask_b32_e32 v33, 0, v33, vcc                         // 000000008A08: 00424280
	v_add_u32_e32 v73, 2, v72                                  // 000000008A0C: 68929082
	v_cmp_lt_u32_e32 vcc, v73, v105                            // 000000008A10: 7D92D349
	v_cndmask_b32_e32 v34, 0, v34, vcc                         // 000000008A14: 00444480
	v_add_u32_e32 v73, 3, v72                                  // 000000008A18: 68929083
	v_cmp_lt_u32_e32 vcc, v73, v105                            // 000000008A1C: 7D92D349
	v_cndmask_b32_e32 v35, 0, v35, vcc                         // 000000008A20: 00464680
	v_add_u32_e32 v73, 64, v72                                 // 000000008A24: 689290C0
	v_cmp_lt_u32_e32 vcc, v73, v105                            // 000000008A28: 7D92D349
	v_cndmask_b32_e32 v36, 0, v36, vcc                         // 000000008A2C: 00484880
	v_add_u32_e32 v73, 0x41, v72                               // 000000008A30: 689290FF 00000041
	v_cmp_lt_u32_e32 vcc, v73, v105                            // 000000008A38: 7D92D349
	v_cndmask_b32_e32 v37, 0, v37, vcc                         // 000000008A3C: 004A4A80
	v_add_u32_e32 v73, 0x42, v72                               // 000000008A40: 689290FF 00000042
	v_cmp_lt_u32_e32 vcc, v73, v105                            // 000000008A48: 7D92D349
	v_cndmask_b32_e32 v38, 0, v38, vcc                         // 000000008A4C: 004C4C80
	v_add_u32_e32 v73, 0x43, v72                               // 000000008A50: 689290FF 00000043
	v_cmp_lt_u32_e32 vcc, v73, v105                            // 000000008A58: 7D92D349
	v_cndmask_b32_e32 v39, 0, v39, vcc                         // 000000008A5C: 004E4E80
	v_add_u32_e32 v73, 0x80, v72                               // 000000008A60: 689290FF 00000080
	v_cmp_lt_u32_e32 vcc, v73, v105                            // 000000008A68: 7D92D349
	v_cndmask_b32_e32 v40, 0, v40, vcc                         // 000000008A6C: 00505080
	v_add_u32_e32 v73, 0x81, v72                               // 000000008A70: 689290FF 00000081
	v_cmp_lt_u32_e32 vcc, v73, v105                            // 000000008A78: 7D92D349
	v_cndmask_b32_e32 v41, 0, v41, vcc                         // 000000008A7C: 00525280
	v_add_u32_e32 v73, 0x82, v72                               // 000000008A80: 689290FF 00000082
	v_cmp_lt_u32_e32 vcc, v73, v105                            // 000000008A88: 7D92D349
	v_cndmask_b32_e32 v42, 0, v42, vcc                         // 000000008A8C: 00545480
	v_add_u32_e32 v73, 0x83, v72                               // 000000008A90: 689290FF 00000083
	v_cmp_lt_u32_e32 vcc, v73, v105                            // 000000008A98: 7D92D349
	v_cndmask_b32_e32 v43, 0, v43, vcc                         // 000000008A9C: 00565680
	v_add_u32_e32 v73, 0xc0, v72                               // 000000008AA0: 689290FF 000000C0
	v_cmp_lt_u32_e32 vcc, v73, v105                            // 000000008AA8: 7D92D349
	v_cndmask_b32_e32 v44, 0, v44, vcc                         // 000000008AAC: 00585880
	v_add_u32_e32 v73, 0xc1, v72                               // 000000008AB0: 689290FF 000000C1
	v_cmp_lt_u32_e32 vcc, v73, v105                            // 000000008AB8: 7D92D349
	v_cndmask_b32_e32 v45, 0, v45, vcc                         // 000000008ABC: 005A5A80
	v_add_u32_e32 v73, 0xc2, v72                               // 000000008AC0: 689290FF 000000C2
	v_cmp_lt_u32_e32 vcc, v73, v105                            // 000000008AC8: 7D92D349
	v_cndmask_b32_e32 v46, 0, v46, vcc                         // 000000008ACC: 005C5C80
	v_add_u32_e32 v73, 0xc3, v72                               // 000000008AD0: 689290FF 000000C3
	v_cmp_lt_u32_e32 vcc, v73, v105                            // 000000008AD8: 7D92D349
	v_cndmask_b32_e32 v47, 0, v47, vcc                         // 000000008ADC: 005E5E80
	buffer_load_dword v67, v116, s[20:23], 0 offen             // 000000008AE0: E0501000 80054374
	v_sub_f32_e32 v94, v96, v97                                // 000000008AE8: 04BCC360
	v_cmp_eq_u32_e64 s[98:99], v107, v96                       // 000000008AEC: D0CA0062 0002C16B
	s_nop 0                                                    // 000000008AF4: BF800000
	v_cndmask_b32_e64 v94, v94, 0, s[98:99]                    // 000000008AF8: D100005E 0189015E
	v_mov_b32_e32 v96, v97                                     // 000000008B00: 7EC00361
	v_mul_f32_e32 v94, s46, v94                                // 000000008B04: 0ABCBC2E
	v_exp_f32_e32 v94, v94                                     // 000000008B08: 7EBC415E
	s_nop 0                                                    // 000000008B0C: BF800000
	v_mov_b32_e32 v95, v94                                     // 000000008B10: 7EBE035E
	buffer_load_dword v69, v117, s[24:27], 0 offen             // 000000008B14: E0501000 80064575
	s_waitcnt lgkmcnt(0)                                       // 000000008B1C: BF8CC07F
	s_barrier                                                  // 000000008B20: BF8A0000
	buffer_load_dwordx4 a[96:99], v112, s[16:19], 0 offen      // 000000008B24: E05C1000 80846070
	v_mul_f32_e32 v98, v94, v98                                // 000000008B2C: 0AC4C55E
	v_add_f32_e32 v98, v16, v98                                // 000000008B30: 02C4C510
	v_add_f32_e32 v98, v17, v98                                // 000000008B34: 02C4C511
	v_add_f32_e32 v98, v18, v98                                // 000000008B38: 02C4C512
	v_add_f32_e32 v98, v19, v98                                // 000000008B3C: 02C4C513
	v_add_f32_e32 v98, v20, v98                                // 000000008B40: 02C4C514
	v_add_f32_e32 v98, v21, v98                                // 000000008B44: 02C4C515
	v_add_f32_e32 v98, v22, v98                                // 000000008B48: 02C4C516
	v_add_f32_e32 v98, v23, v98                                // 000000008B4C: 02C4C517
	v_add_f32_e32 v98, v24, v98                                // 000000008B50: 02C4C518
	v_add_f32_e32 v98, v25, v98                                // 000000008B54: 02C4C519
	v_add_f32_e32 v98, v26, v98                                // 000000008B58: 02C4C51A
	v_add_f32_e32 v98, v27, v98                                // 000000008B5C: 02C4C51B
	v_add_f32_e32 v98, v28, v98                                // 000000008B60: 02C4C51C
	v_add_f32_e32 v98, v29, v98                                // 000000008B64: 02C4C51D
	v_add_f32_e32 v98, v30, v98                                // 000000008B68: 02C4C51E
	v_add_f32_e32 v98, v31, v98                                // 000000008B6C: 02C4C51F
	buffer_load_dwordx4 a[100:103], v113, s[16:19], 0 offen    // 000000008B70: E05C1000 80846471
	s_waitcnt lgkmcnt(0)                                       // 000000008B78: BF8CC07F
	v_sub_f32_e32 v92, v92, v96                                // 000000008B7C: 04B8C15C
	v_mul_f32_e32 v92, s46, v92                                // 000000008B80: 0AB8B82E
	v_exp_f32_e32 v92, v92                                     // 000000008B84: 7EB8415C
	s_nop 0                                                    // 000000008B88: BF800000
	v_mul_f32_e32 v92, v68, v92                                // 000000008B8C: 0AB8B944
	v_add_f32_e32 v92, 0x3089705f, v92                         // 000000008B90: 02B8B8FF 3089705F
	v_rcp_f32_e32 v92, v92                                     // 000000008B98: 7EB8455C
	s_nop 0                                                    // 000000008B9C: BF800000
	v_mul_f32_e32 v92, 0x43700000, v92                         // 000000008BA0: 0AB8B8FF 43700000
	v_mov_b32_e32 v93, v92                                     // 000000008BA8: 7EBA035C
	v_pk_mul_f32 v[16:17], v[92:93], v[32:33]                  // 000000008BAC: D3B14010 1802415C
	v_pk_mul_f32 v[18:19], v[92:93], v[34:35]                  // 000000008BB4: D3B14012 1802455C
	v_pk_mul_f32 v[20:21], v[92:93], v[36:37]                  // 000000008BBC: D3B14014 1802495C
	v_pk_mul_f32 v[22:23], v[92:93], v[38:39]                  // 000000008BC4: D3B14016 18024D5C
	v_pk_mul_f32 v[24:25], v[92:93], v[40:41]                  // 000000008BCC: D3B14018 1802515C
	v_pk_mul_f32 v[26:27], v[92:93], v[42:43]                  // 000000008BD4: D3B1401A 1802555C
	v_pk_mul_f32 v[28:29], v[92:93], v[44:45]                  // 000000008BDC: D3B1401C 1802595C
	v_pk_mul_f32 v[30:31], v[92:93], v[46:47]                  // 000000008BE4: D3B1401E 18025D5C
	v_cvt_pk_fp8_f32 v16, v16, v17                             // 000000008BEC: D2A20010 00022310
	v_cvt_pk_fp8_f32 v16, v18, v19 op_sel:[0,0,1]              // 000000008BF4: D2A24010 00022712
	v_cvt_pk_fp8_f32 v17, v20, v21                             // 000000008BFC: D2A20011 00022B14
	v_cvt_pk_fp8_f32 v17, v22, v23 op_sel:[0,0,1]              // 000000008C04: D2A24011 00022F16
	v_cvt_pk_fp8_f32 v18, v24, v25                             // 000000008C0C: D2A20012 00023318
	v_cvt_pk_fp8_f32 v18, v26, v27 op_sel:[0,0,1]              // 000000008C14: D2A24012 0002371A
	v_cvt_pk_fp8_f32 v19, v28, v29                             // 000000008C1C: D2A20013 00023B1C
	v_cvt_pk_fp8_f32 v19, v30, v31 op_sel:[0,0,1]              // 000000008C24: D2A24013 00023F1E
	ds_write_b32 v130, v16 offset:2560                         // 000000008C2C: D81A0A00 00001082
	ds_write_b32 v130, v17 offset:3584                         // 000000008C34: D81A0E00 00001182
	ds_write_b32 v130, v18 offset:4608                         // 000000008C3C: D81A1200 00001282
	ds_write_b32 v130, v19 offset:5632                         // 000000008C44: D81A1600 00001382
	v_rcp_f32_e32 v70, v92                                     // 000000008C4C: 7E8C455C
	s_nop 0                                                    // 000000008C50: BF800000
	v_mov_b32_e32 v71, v70                                     // 000000008C54: 7E8E0346
	buffer_load_dwordx4 a[104:107], v114, s[16:19], 0 offen    // 000000008C58: E05C1000 80846872
	v_pk_add_f32 v[56:57], v[56:57], v[48:49]                  // 000000008C60: D3B24038 18026138
	v_pk_add_f32 v[58:59], v[58:59], v[50:51]                  // 000000008C68: D3B2403A 1802653A
	v_pk_add_f32 v[60:61], v[60:61], v[52:53]                  // 000000008C70: D3B2403C 1802693C
	v_pk_add_f32 v[62:63], v[62:63], v[54:55]                  // 000000008C78: D3B2403E 18026D3E
	s_waitcnt lgkmcnt(0)                                       // 000000008C80: BF8CC07F
	s_barrier                                                  // 000000008C84: BF8A0000
	ds_read_b128 v[16:19], v131 offset:2560                    // 000000008C88: D9FE0A00 10000083
	ds_read_b128 v[20:23], v131 offset:3584                    // 000000008C90: D9FE0E00 14000083
	ds_read_b128 v[24:27], v131 offset:4608                    // 000000008C98: D9FE1200 18000083
	ds_read_b128 v[28:31], v131 offset:5632                    // 000000008CA0: D9FE1600 1C000083
	buffer_load_dwordx4 a[108:111], v115, s[16:19], 0 offen    // 000000008CA8: E05C1000 80846C73
	s_waitcnt vmcnt(14)                                        // 000000008CB0: BF8C0F7E
	v_lshrrev_b32_e32 v100, 4, v0                              // 000000008CB4: 20C80084
	v_lshlrev_b32_e32 v100, 4, v100                            // 000000008CB8: 24C8C884
	v_add_u32_e32 v72, s64, v100                               // 000000008CBC: 6890C840
	v_add_u32_e32 v72, 4, v72                                  // 000000008CC0: 68909084
	v_sub_i32 v72, v72, s62                                    // 000000008CC4: D29D0048 00007D48
	s_mov_b32 s54, 0                                           // 000000008CCC: BEB60080
	v_add_i32 v73, s54, v72                                    // 000000008CD0: D29C0049 00029036
	v_cmp_lt_i32_e64 vcc, v73, 4                               // 000000008CD8: D0C1006A 00010949
	v_min_u32_e32 v73, 4, v73                                  // 000000008CE0: 1C929284
	v_lshlrev_b32_e32 v73, 3, v73                              // 000000008CE4: 24929283
	v_lshrrev_b32_e64 v74, v73, -1                             // 000000008CE8: D110004A 00018349
	v_accvgpr_read_b32 v75, a64                                // 000000008CF0: D3D8404B 18000140
	v_cndmask_b32_e32 v75, 0, v75, vcc                         // 000000008CF8: 00969680
	v_and_b32_e32 v75, v75, v74                                // 000000008CFC: 2696954B
	v_accvgpr_write_b32 a64, v75                               // 000000008D00: D3D94040 1800014B
	v_accvgpr_read_b32 v75, a80                                // 000000008D08: D3D8404B 18000150
	v_cndmask_b32_e32 v75, 0, v75, vcc                         // 000000008D10: 00969680
	v_and_b32_e32 v75, v75, v74                                // 000000008D14: 2696954B
	v_accvgpr_write_b32 a80, v75                               // 000000008D18: D3D94050 1800014B
	s_mov_b32 s54, 4                                           // 000000008D20: BEB60084
	v_add_i32 v73, s54, v72                                    // 000000008D24: D29C0049 00029036
	v_cmp_lt_i32_e64 vcc, v73, 4                               // 000000008D2C: D0C1006A 00010949
	v_min_u32_e32 v73, 4, v73                                  // 000000008D34: 1C929284
	v_lshlrev_b32_e32 v73, 3, v73                              // 000000008D38: 24929283
	v_lshrrev_b32_e64 v74, v73, -1                             // 000000008D3C: D110004A 00018349
	v_accvgpr_read_b32 v75, a65                                // 000000008D44: D3D8404B 18000141
	v_cndmask_b32_e32 v75, 0, v75, vcc                         // 000000008D4C: 00969680
	v_and_b32_e32 v75, v75, v74                                // 000000008D50: 2696954B
	v_accvgpr_write_b32 a65, v75                               // 000000008D54: D3D94041 1800014B
	v_accvgpr_read_b32 v75, a81                                // 000000008D5C: D3D8404B 18000151
	v_cndmask_b32_e32 v75, 0, v75, vcc                         // 000000008D64: 00969680
	v_and_b32_e32 v75, v75, v74                                // 000000008D68: 2696954B
	v_accvgpr_write_b32 a81, v75                               // 000000008D6C: D3D94051 1800014B
	s_mov_b32 s54, 8                                           // 000000008D74: BEB60088
	v_add_i32 v73, s54, v72                                    // 000000008D78: D29C0049 00029036
	v_cmp_lt_i32_e64 vcc, v73, 4                               // 000000008D80: D0C1006A 00010949
	v_min_u32_e32 v73, 4, v73                                  // 000000008D88: 1C929284
	v_lshlrev_b32_e32 v73, 3, v73                              // 000000008D8C: 24929283
	v_lshrrev_b32_e64 v74, v73, -1                             // 000000008D90: D110004A 00018349
	v_accvgpr_read_b32 v75, a66                                // 000000008D98: D3D8404B 18000142
	v_cndmask_b32_e32 v75, 0, v75, vcc                         // 000000008DA0: 00969680
	v_and_b32_e32 v75, v75, v74                                // 000000008DA4: 2696954B
	v_accvgpr_write_b32 a66, v75                               // 000000008DA8: D3D94042 1800014B
	v_accvgpr_read_b32 v75, a82                                // 000000008DB0: D3D8404B 18000152
	v_cndmask_b32_e32 v75, 0, v75, vcc                         // 000000008DB8: 00969680
	v_and_b32_e32 v75, v75, v74                                // 000000008DBC: 2696954B
	v_accvgpr_write_b32 a82, v75                               // 000000008DC0: D3D94052 1800014B
	s_mov_b32 s54, 12                                          // 000000008DC8: BEB6008C
	v_add_i32 v73, s54, v72                                    // 000000008DCC: D29C0049 00029036
	v_cmp_lt_i32_e64 vcc, v73, 4                               // 000000008DD4: D0C1006A 00010949
	v_min_u32_e32 v73, 4, v73                                  // 000000008DDC: 1C929284
	v_lshlrev_b32_e32 v73, 3, v73                              // 000000008DE0: 24929283
	v_lshrrev_b32_e64 v74, v73, -1                             // 000000008DE4: D110004A 00018349
	v_accvgpr_read_b32 v75, a67                                // 000000008DEC: D3D8404B 18000143
	v_cndmask_b32_e32 v75, 0, v75, vcc                         // 000000008DF4: 00969680
	v_and_b32_e32 v75, v75, v74                                // 000000008DF8: 2696954B
	v_accvgpr_write_b32 a67, v75                               // 000000008DFC: D3D94043 1800014B
	v_accvgpr_read_b32 v75, a83                                // 000000008E04: D3D8404B 18000153
	v_cndmask_b32_e32 v75, 0, v75, vcc                         // 000000008E0C: 00969680
	v_and_b32_e32 v75, v75, v74                                // 000000008E10: 2696954B
	v_accvgpr_write_b32 a83, v75                               // 000000008E14: D3D94053 1800014B
	s_mov_b32 s54, 64                                          // 000000008E1C: BEB600C0
	v_add_i32 v73, s54, v72                                    // 000000008E20: D29C0049 00029036
	v_cmp_lt_i32_e64 vcc, v73, 4                               // 000000008E28: D0C1006A 00010949
	v_min_u32_e32 v73, 4, v73                                  // 000000008E30: 1C929284
	v_lshlrev_b32_e32 v73, 3, v73                              // 000000008E34: 24929283
	v_lshrrev_b32_e64 v74, v73, -1                             // 000000008E38: D110004A 00018349
	v_accvgpr_read_b32 v75, a68                                // 000000008E40: D3D8404B 18000144
	v_cndmask_b32_e32 v75, 0, v75, vcc                         // 000000008E48: 00969680
	v_and_b32_e32 v75, v75, v74                                // 000000008E4C: 2696954B
	v_accvgpr_write_b32 a68, v75                               // 000000008E50: D3D94044 1800014B
	v_accvgpr_read_b32 v75, a84                                // 000000008E58: D3D8404B 18000154
	v_cndmask_b32_e32 v75, 0, v75, vcc                         // 000000008E60: 00969680
	v_and_b32_e32 v75, v75, v74                                // 000000008E64: 2696954B
	v_accvgpr_write_b32 a84, v75                               // 000000008E68: D3D94054 1800014B
	s_mov_b32 s54, 0x44                                        // 000000008E70: BEB600FF 00000044
	v_add_i32 v73, s54, v72                                    // 000000008E78: D29C0049 00029036
	v_cmp_lt_i32_e64 vcc, v73, 4                               // 000000008E80: D0C1006A 00010949
	v_min_u32_e32 v73, 4, v73                                  // 000000008E88: 1C929284
	v_lshlrev_b32_e32 v73, 3, v73                              // 000000008E8C: 24929283
	v_lshrrev_b32_e64 v74, v73, -1                             // 000000008E90: D110004A 00018349
	v_accvgpr_read_b32 v75, a69                                // 000000008E98: D3D8404B 18000145
	v_cndmask_b32_e32 v75, 0, v75, vcc                         // 000000008EA0: 00969680
	v_and_b32_e32 v75, v75, v74                                // 000000008EA4: 2696954B
	v_accvgpr_write_b32 a69, v75                               // 000000008EA8: D3D94045 1800014B
	v_accvgpr_read_b32 v75, a85                                // 000000008EB0: D3D8404B 18000155
	v_cndmask_b32_e32 v75, 0, v75, vcc                         // 000000008EB8: 00969680
	v_and_b32_e32 v75, v75, v74                                // 000000008EBC: 2696954B
	v_accvgpr_write_b32 a85, v75                               // 000000008EC0: D3D94055 1800014B
	s_mov_b32 s54, 0x48                                        // 000000008EC8: BEB600FF 00000048
	v_add_i32 v73, s54, v72                                    // 000000008ED0: D29C0049 00029036
	v_cmp_lt_i32_e64 vcc, v73, 4                               // 000000008ED8: D0C1006A 00010949
	v_min_u32_e32 v73, 4, v73                                  // 000000008EE0: 1C929284
	v_lshlrev_b32_e32 v73, 3, v73                              // 000000008EE4: 24929283
	v_lshrrev_b32_e64 v74, v73, -1                             // 000000008EE8: D110004A 00018349
	v_accvgpr_read_b32 v75, a70                                // 000000008EF0: D3D8404B 18000146
	v_cndmask_b32_e32 v75, 0, v75, vcc                         // 000000008EF8: 00969680
	v_and_b32_e32 v75, v75, v74                                // 000000008EFC: 2696954B
	v_accvgpr_write_b32 a70, v75                               // 000000008F00: D3D94046 1800014B
	v_accvgpr_read_b32 v75, a86                                // 000000008F08: D3D8404B 18000156
	v_cndmask_b32_e32 v75, 0, v75, vcc                         // 000000008F10: 00969680
	v_and_b32_e32 v75, v75, v74                                // 000000008F14: 2696954B
	v_accvgpr_write_b32 a86, v75                               // 000000008F18: D3D94056 1800014B
	s_mov_b32 s54, 0x4c                                        // 000000008F20: BEB600FF 0000004C
	v_add_i32 v73, s54, v72                                    // 000000008F28: D29C0049 00029036
	v_cmp_lt_i32_e64 vcc, v73, 4                               // 000000008F30: D0C1006A 00010949
	v_min_u32_e32 v73, 4, v73                                  // 000000008F38: 1C929284
	v_lshlrev_b32_e32 v73, 3, v73                              // 000000008F3C: 24929283
	v_lshrrev_b32_e64 v74, v73, -1                             // 000000008F40: D110004A 00018349
	v_accvgpr_read_b32 v75, a71                                // 000000008F48: D3D8404B 18000147
	v_cndmask_b32_e32 v75, 0, v75, vcc                         // 000000008F50: 00969680
	v_and_b32_e32 v75, v75, v74                                // 000000008F54: 2696954B
	v_accvgpr_write_b32 a71, v75                               // 000000008F58: D3D94047 1800014B
	v_accvgpr_read_b32 v75, a87                                // 000000008F60: D3D8404B 18000157
	v_cndmask_b32_e32 v75, 0, v75, vcc                         // 000000008F68: 00969680
	v_and_b32_e32 v75, v75, v74                                // 000000008F6C: 2696954B
	v_accvgpr_write_b32 a87, v75                               // 000000008F70: D3D94057 1800014B
	s_mov_b32 s54, 0x80                                        // 000000008F78: BEB600FF 00000080
	v_add_i32 v73, s54, v72                                    // 000000008F80: D29C0049 00029036
	v_cmp_lt_i32_e64 vcc, v73, 4                               // 000000008F88: D0C1006A 00010949
	v_min_u32_e32 v73, 4, v73                                  // 000000008F90: 1C929284
	v_lshlrev_b32_e32 v73, 3, v73                              // 000000008F94: 24929283
	v_lshrrev_b32_e64 v74, v73, -1                             // 000000008F98: D110004A 00018349
	v_accvgpr_read_b32 v75, a72                                // 000000008FA0: D3D8404B 18000148
	v_cndmask_b32_e32 v75, 0, v75, vcc                         // 000000008FA8: 00969680
	v_and_b32_e32 v75, v75, v74                                // 000000008FAC: 2696954B
	v_accvgpr_write_b32 a72, v75                               // 000000008FB0: D3D94048 1800014B
	v_accvgpr_read_b32 v75, a88                                // 000000008FB8: D3D8404B 18000158
	v_cndmask_b32_e32 v75, 0, v75, vcc                         // 000000008FC0: 00969680
	v_and_b32_e32 v75, v75, v74                                // 000000008FC4: 2696954B
	v_accvgpr_write_b32 a88, v75                               // 000000008FC8: D3D94058 1800014B
	s_mov_b32 s54, 0x84                                        // 000000008FD0: BEB600FF 00000084
	v_add_i32 v73, s54, v72                                    // 000000008FD8: D29C0049 00029036
	v_cmp_lt_i32_e64 vcc, v73, 4                               // 000000008FE0: D0C1006A 00010949
	v_min_u32_e32 v73, 4, v73                                  // 000000008FE8: 1C929284
	v_lshlrev_b32_e32 v73, 3, v73                              // 000000008FEC: 24929283
	v_lshrrev_b32_e64 v74, v73, -1                             // 000000008FF0: D110004A 00018349
	v_accvgpr_read_b32 v75, a73                                // 000000008FF8: D3D8404B 18000149
	v_cndmask_b32_e32 v75, 0, v75, vcc                         // 000000009000: 00969680
	v_and_b32_e32 v75, v75, v74                                // 000000009004: 2696954B
	v_accvgpr_write_b32 a73, v75                               // 000000009008: D3D94049 1800014B
	v_accvgpr_read_b32 v75, a89                                // 000000009010: D3D8404B 18000159
	v_cndmask_b32_e32 v75, 0, v75, vcc                         // 000000009018: 00969680
	v_and_b32_e32 v75, v75, v74                                // 00000000901C: 2696954B
	v_accvgpr_write_b32 a89, v75                               // 000000009020: D3D94059 1800014B
	s_mov_b32 s54, 0x88                                        // 000000009028: BEB600FF 00000088
	v_add_i32 v73, s54, v72                                    // 000000009030: D29C0049 00029036
	v_cmp_lt_i32_e64 vcc, v73, 4                               // 000000009038: D0C1006A 00010949
	v_min_u32_e32 v73, 4, v73                                  // 000000009040: 1C929284
	v_lshlrev_b32_e32 v73, 3, v73                              // 000000009044: 24929283
	v_lshrrev_b32_e64 v74, v73, -1                             // 000000009048: D110004A 00018349
	v_accvgpr_read_b32 v75, a74                                // 000000009050: D3D8404B 1800014A
	v_cndmask_b32_e32 v75, 0, v75, vcc                         // 000000009058: 00969680
	v_and_b32_e32 v75, v75, v74                                // 00000000905C: 2696954B
	v_accvgpr_write_b32 a74, v75                               // 000000009060: D3D9404A 1800014B
	v_accvgpr_read_b32 v75, a90                                // 000000009068: D3D8404B 1800015A
	v_cndmask_b32_e32 v75, 0, v75, vcc                         // 000000009070: 00969680
	v_and_b32_e32 v75, v75, v74                                // 000000009074: 2696954B
	v_accvgpr_write_b32 a90, v75                               // 000000009078: D3D9405A 1800014B
	s_mov_b32 s54, 0x8c                                        // 000000009080: BEB600FF 0000008C
	v_add_i32 v73, s54, v72                                    // 000000009088: D29C0049 00029036
	v_cmp_lt_i32_e64 vcc, v73, 4                               // 000000009090: D0C1006A 00010949
	v_min_u32_e32 v73, 4, v73                                  // 000000009098: 1C929284
	v_lshlrev_b32_e32 v73, 3, v73                              // 00000000909C: 24929283
	v_lshrrev_b32_e64 v74, v73, -1                             // 0000000090A0: D110004A 00018349
	v_accvgpr_read_b32 v75, a75                                // 0000000090A8: D3D8404B 1800014B
	v_cndmask_b32_e32 v75, 0, v75, vcc                         // 0000000090B0: 00969680
	v_and_b32_e32 v75, v75, v74                                // 0000000090B4: 2696954B
	v_accvgpr_write_b32 a75, v75                               // 0000000090B8: D3D9404B 1800014B
	v_accvgpr_read_b32 v75, a91                                // 0000000090C0: D3D8404B 1800015B
	v_cndmask_b32_e32 v75, 0, v75, vcc                         // 0000000090C8: 00969680
	v_and_b32_e32 v75, v75, v74                                // 0000000090CC: 2696954B
	v_accvgpr_write_b32 a91, v75                               // 0000000090D0: D3D9405B 1800014B
	s_mov_b32 s54, 0xc0                                        // 0000000090D8: BEB600FF 000000C0
	v_add_i32 v73, s54, v72                                    // 0000000090E0: D29C0049 00029036
	v_cmp_lt_i32_e64 vcc, v73, 4                               // 0000000090E8: D0C1006A 00010949
	v_min_u32_e32 v73, 4, v73                                  // 0000000090F0: 1C929284
	v_lshlrev_b32_e32 v73, 3, v73                              // 0000000090F4: 24929283
	v_lshrrev_b32_e64 v74, v73, -1                             // 0000000090F8: D110004A 00018349
	v_accvgpr_read_b32 v75, a76                                // 000000009100: D3D8404B 1800014C
	v_cndmask_b32_e32 v75, 0, v75, vcc                         // 000000009108: 00969680
	v_and_b32_e32 v75, v75, v74                                // 00000000910C: 2696954B
	v_accvgpr_write_b32 a76, v75                               // 000000009110: D3D9404C 1800014B
	v_accvgpr_read_b32 v75, a92                                // 000000009118: D3D8404B 1800015C
	v_cndmask_b32_e32 v75, 0, v75, vcc                         // 000000009120: 00969680
	v_and_b32_e32 v75, v75, v74                                // 000000009124: 2696954B
	v_accvgpr_write_b32 a92, v75                               // 000000009128: D3D9405C 1800014B
	s_mov_b32 s54, 0xc4                                        // 000000009130: BEB600FF 000000C4
	v_add_i32 v73, s54, v72                                    // 000000009138: D29C0049 00029036
	v_cmp_lt_i32_e64 vcc, v73, 4                               // 000000009140: D0C1006A 00010949
	v_min_u32_e32 v73, 4, v73                                  // 000000009148: 1C929284
	v_lshlrev_b32_e32 v73, 3, v73                              // 00000000914C: 24929283
	v_lshrrev_b32_e64 v74, v73, -1                             // 000000009150: D110004A 00018349
	v_accvgpr_read_b32 v75, a77                                // 000000009158: D3D8404B 1800014D
	v_cndmask_b32_e32 v75, 0, v75, vcc                         // 000000009160: 00969680
	v_and_b32_e32 v75, v75, v74                                // 000000009164: 2696954B
	v_accvgpr_write_b32 a77, v75                               // 000000009168: D3D9404D 1800014B
	v_accvgpr_read_b32 v75, a93                                // 000000009170: D3D8404B 1800015D
	v_cndmask_b32_e32 v75, 0, v75, vcc                         // 000000009178: 00969680
	v_and_b32_e32 v75, v75, v74                                // 00000000917C: 2696954B
	v_accvgpr_write_b32 a93, v75                               // 000000009180: D3D9405D 1800014B
	s_mov_b32 s54, 0xc8                                        // 000000009188: BEB600FF 000000C8
	v_add_i32 v73, s54, v72                                    // 000000009190: D29C0049 00029036
	v_cmp_lt_i32_e64 vcc, v73, 4                               // 000000009198: D0C1006A 00010949
	v_min_u32_e32 v73, 4, v73                                  // 0000000091A0: 1C929284
	v_lshlrev_b32_e32 v73, 3, v73                              // 0000000091A4: 24929283
	v_lshrrev_b32_e64 v74, v73, -1                             // 0000000091A8: D110004A 00018349
	v_accvgpr_read_b32 v75, a78                                // 0000000091B0: D3D8404B 1800014E
	v_cndmask_b32_e32 v75, 0, v75, vcc                         // 0000000091B8: 00969680
	v_and_b32_e32 v75, v75, v74                                // 0000000091BC: 2696954B
	v_accvgpr_write_b32 a78, v75                               // 0000000091C0: D3D9404E 1800014B
	v_accvgpr_read_b32 v75, a94                                // 0000000091C8: D3D8404B 1800015E
	v_cndmask_b32_e32 v75, 0, v75, vcc                         // 0000000091D0: 00969680
	v_and_b32_e32 v75, v75, v74                                // 0000000091D4: 2696954B
	v_accvgpr_write_b32 a94, v75                               // 0000000091D8: D3D9405E 1800014B
	s_mov_b32 s54, 0xcc                                        // 0000000091E0: BEB600FF 000000CC
	v_add_i32 v73, s54, v72                                    // 0000000091E8: D29C0049 00029036
	v_cmp_lt_i32_e64 vcc, v73, 4                               // 0000000091F0: D0C1006A 00010949
	v_min_u32_e32 v73, 4, v73                                  // 0000000091F8: 1C929284
	v_lshlrev_b32_e32 v73, 3, v73                              // 0000000091FC: 24929283
	v_lshrrev_b32_e64 v74, v73, -1                             // 000000009200: D110004A 00018349
	v_accvgpr_read_b32 v75, a79                                // 000000009208: D3D8404B 1800014F
	v_cndmask_b32_e32 v75, 0, v75, vcc                         // 000000009210: 00969680
	v_and_b32_e32 v75, v75, v74                                // 000000009214: 2696954B
	v_accvgpr_write_b32 a79, v75                               // 000000009218: D3D9404F 1800014B
	v_accvgpr_read_b32 v75, a95                                // 000000009220: D3D8404B 1800015F
	v_cndmask_b32_e32 v75, 0, v75, vcc                         // 000000009228: 00969680
	v_and_b32_e32 v75, v75, v74                                // 00000000922C: 2696954B
	v_accvgpr_write_b32 a95, v75                               // 000000009230: D3D9405F 1800014B
	s_waitcnt lgkmcnt(3)                                       // 000000009238: BF8CC37F
	v_mfma_f32_16x16x32_fp8_fp8 v[48:51], a[64:65], v[16:17], 0// 00000000923C: D3F30030 0A022140
	v_mfma_f32_16x16x32_fp8_fp8 v[52:55], a[80:81], v[16:17], 0// 000000009244: D3F30034 0A022150
	v_mfma_f32_16x16x32_fp8_fp8 v[48:51], a[66:67], v[18:19], v[48:51]// 00000000924C: D3F30030 0CC22542
	buffer_load_dwordx4 a[112:115], v112, s[16:19], 0 offen offset:1024// 000000009254: E05C1400 80847070
	v_mfma_f32_16x16x32_fp8_fp8 v[52:55], a[82:83], v[18:19], v[52:55]// 00000000925C: D3F30034 0CD22552
	s_waitcnt lgkmcnt(2)                                       // 000000009264: BF8CC27F
	v_mfma_f32_16x16x32_fp8_fp8 v[48:51], a[68:69], v[20:21], v[48:51]// 000000009268: D3F30030 0CC22944
	v_mfma_f32_16x16x32_fp8_fp8 v[52:55], a[84:85], v[20:21], v[52:55]// 000000009270: D3F30034 0CD22954
	v_mfma_f32_16x16x32_fp8_fp8 v[48:51], a[70:71], v[22:23], v[48:51]// 000000009278: D3F30030 0CC22D46
	buffer_load_dwordx4 a[116:119], v113, s[16:19], 0 offen offset:1024// 000000009280: E05C1400 80847471
	v_mfma_f32_16x16x32_fp8_fp8 v[52:55], a[86:87], v[22:23], v[52:55]// 000000009288: D3F30034 0CD22D56
	s_waitcnt lgkmcnt(1)                                       // 000000009290: BF8CC17F
	v_mfma_f32_16x16x32_fp8_fp8 v[48:51], a[72:73], v[24:25], v[48:51]// 000000009294: D3F30030 0CC23148
	v_mfma_f32_16x16x32_fp8_fp8 v[52:55], a[88:89], v[24:25], v[52:55]// 00000000929C: D3F30034 0CD23158
	v_mfma_f32_16x16x32_fp8_fp8 v[48:51], a[74:75], v[26:27], v[48:51]// 0000000092A4: D3F30030 0CC2354A
	buffer_load_dwordx4 a[120:123], v114, s[16:19], 0 offen offset:1024// 0000000092AC: E05C1400 80847872
	v_mfma_f32_16x16x32_fp8_fp8 v[52:55], a[90:91], v[26:27], v[52:55]// 0000000092B4: D3F30034 0CD2355A
	s_waitcnt lgkmcnt(0)                                       // 0000000092BC: BF8CC07F
	v_mfma_f32_16x16x32_fp8_fp8 v[48:51], a[76:77], v[28:29], v[48:51]// 0000000092C0: D3F30030 0CC2394C
	v_mfma_f32_16x16x32_fp8_fp8 v[52:55], a[92:93], v[28:29], v[52:55]// 0000000092C8: D3F30034 0CD2395C
	v_mfma_f32_16x16x32_fp8_fp8 v[48:51], a[78:79], v[30:31], v[48:51]// 0000000092D0: D3F30030 0CC23D4E
	buffer_load_dwordx4 a[124:127], v115, s[16:19], 0 offen offset:1024// 0000000092D8: E05C1400 80847C73
	v_mfma_f32_16x16x32_fp8_fp8 v[52:55], a[94:95], v[30:31], v[52:55]// 0000000092E0: D3F30034 0CD23D5E
	s_addk_i32 s64, 0x100                                      // 0000000092E8: B7400100

00000000000092ec <label_1B3B>:
	s_cmp_lt_i32 s64, s62                                      // 0000000092EC: BF043E40
	s_cbranch_scc0 label_1EF1                                  // 0000000092F0: BF8403B4
	s_waitcnt vmcnt(10)                                        // 0000000092F4: BF8C0F7A
	v_mfma_f32_16x16x32_fp8_fp8 v[16:19], a[32:33], v[8:9], 0  // 0000000092F8: D3F30010 0A021120
	s_add_u32 s12, s86, s69                                    // 000000009300: 800C4556
	s_addc_u32 s13, s87, 0                                     // 000000009304: 820D8057
	v_mfma_f32_16x16x32_fp8_fp8 v[16:19], a[34:35], v[10:11], v[16:19]// 000000009308: D3F30010 0C421522
	s_add_u32 s16, s88, s70                                    // 000000009310: 80104658
	s_addc_u32 s17, s89, 0                                     // 000000009314: 82118059
	v_mfma_f32_16x16x32_fp8_fp8 v[16:19], a[36:37], v[12:13], v[16:19]// 000000009318: D3F30010 0C421924
	buffer_load_dwordx4 a[0:3], v110, s[12:15], 0 offen        // 000000009320: E05C1000 8083006E
	v_mfma_f32_16x16x32_fp8_fp8 v[16:19], a[38:39], v[14:15], v[16:19]// 000000009328: D3F30010 0C421D26
	s_add_u32 s20, s90, s71                                    // 000000009330: 8014475A
	s_addc_u32 s21, s91, 0                                     // 000000009334: 8215805B
	v_mfma_f32_16x16x32_fp8_fp8 v[20:23], a[40:41], v[8:9], 0  // 000000009338: D3F30014 0A021128
	s_add_u32 s24, s92, s71                                    // 000000009340: 8018475C
	s_addc_u32 s25, s93, 0                                     // 000000009344: 8219805D
	v_mfma_f32_16x16x32_fp8_fp8 v[20:23], a[42:43], v[10:11], v[20:23]// 000000009348: D3F30014 0C52152A
	s_add_u32 s69, s69, 0x1000                                 // 000000009350: 8045FF45 00001000
	s_add_u32 s70, s70, 0x8000                                 // 000000009358: 8046FF46 00008000
	v_mfma_f32_16x16x32_fp8_fp8 v[20:23], a[44:45], v[12:13], v[20:23]// 000000009360: D3F30014 0C52192C
	buffer_load_dwordx4 a[4:7], v111, s[12:15], 0 offen        // 000000009368: E05C1000 8083046F
	v_mfma_f32_16x16x32_fp8_fp8 v[20:23], a[46:47], v[14:15], v[20:23]// 000000009370: D3F30014 0C521D2E
	v_mfma_f32_16x16x32_fp8_fp8 v[24:27], a[48:49], v[8:9], 0  // 000000009378: D3F30018 0A021130
	v_mfma_f32_16x16x32_fp8_fp8 v[24:27], a[50:51], v[10:11], v[24:27]// 000000009380: D3F30018 0C621532
	v_mfma_f32_16x16x32_fp8_fp8 v[24:27], a[52:53], v[12:13], v[24:27]// 000000009388: D3F30018 0C621934
	buffer_load_dwordx4 a[8:11], v110, s[12:15], 0 offen offset:1024// 000000009390: E05C1400 8083086E
	v_mfma_f32_16x16x32_fp8_fp8 v[24:27], a[54:55], v[14:15], v[24:27]// 000000009398: D3F30018 0C621D36
	v_mfma_f32_16x16x32_fp8_fp8 v[28:31], a[56:57], v[8:9], 0  // 0000000093A0: D3F3001C 0A021138
	v_mfma_f32_16x16x32_fp8_fp8 v[28:31], a[58:59], v[10:11], v[28:31]// 0000000093A8: D3F3001C 0C72153A
	v_mfma_f32_16x16x32_fp8_fp8 v[28:31], a[60:61], v[12:13], v[28:31]// 0000000093B0: D3F3001C 0C72193C
	buffer_load_dwordx4 a[12:15], v111, s[12:15], 0 offen offset:1024// 0000000093B8: E05C1400 80830C6F
	v_mfma_f32_16x16x32_fp8_fp8 v[28:31], a[62:63], v[14:15], v[28:31]// 0000000093C0: D3F3001C 0C721D3E
	s_waitcnt vmcnt(12)                                        // 0000000093C8: BF8C0F7C
	v_pk_mul_f32 v[16:17], v[64:65], v[16:17]                  // 0000000093CC: D3B14010 18022140
	v_pk_mul_f32 v[18:19], v[64:65], v[18:19]                  // 0000000093D4: D3B14012 18022540
	v_mul_f32_dpp v16, v67, v16 row_newbcast:0 row_mask:0xf bank_mask:0xf// 0000000093DC: 0A2020FA FF015043
	v_mul_f32_dpp v17, v67, v17 row_newbcast:1 row_mask:0xf bank_mask:0xf// 0000000093E4: 0A2222FA FF015143
	v_mul_f32_dpp v18, v67, v18 row_newbcast:2 row_mask:0xf bank_mask:0xf// 0000000093EC: 0A2424FA FF015243
	v_mul_f32_dpp v19, v67, v19 row_newbcast:3 row_mask:0xf bank_mask:0xf// 0000000093F4: 0A2626FA FF015343
	v_pk_mul_f32 v[20:21], v[64:65], v[20:21]                  // 0000000093FC: D3B14014 18022940
	v_pk_mul_f32 v[22:23], v[64:65], v[22:23]                  // 000000009404: D3B14016 18022D40
	v_mul_f32_dpp v20, v67, v20 row_newbcast:4 row_mask:0xf bank_mask:0xf// 00000000940C: 0A2828FA FF015443
	v_mul_f32_dpp v21, v67, v21 row_newbcast:5 row_mask:0xf bank_mask:0xf// 000000009414: 0A2A2AFA FF015543
	v_mul_f32_dpp v22, v67, v22 row_newbcast:6 row_mask:0xf bank_mask:0xf// 00000000941C: 0A2C2CFA FF015643
	v_mul_f32_dpp v23, v67, v23 row_newbcast:7 row_mask:0xf bank_mask:0xf// 000000009424: 0A2E2EFA FF015743
	v_pk_mul_f32 v[24:25], v[64:65], v[24:25]                  // 00000000942C: D3B14018 18023140
	v_pk_mul_f32 v[26:27], v[64:65], v[26:27]                  // 000000009434: D3B1401A 18023540
	v_mul_f32_dpp v24, v67, v24 row_newbcast:8 row_mask:0xf bank_mask:0xf// 00000000943C: 0A3030FA FF015843
	v_mul_f32_dpp v25, v67, v25 row_newbcast:9 row_mask:0xf bank_mask:0xf// 000000009444: 0A3232FA FF015943
	v_mul_f32_dpp v26, v67, v26 row_newbcast:10 row_mask:0xf bank_mask:0xf// 00000000944C: 0A3434FA FF015A43
	v_mul_f32_dpp v27, v67, v27 row_newbcast:11 row_mask:0xf bank_mask:0xf// 000000009454: 0A3636FA FF015B43
	v_pk_mul_f32 v[28:29], v[64:65], v[28:29]                  // 00000000945C: D3B1401C 18023940
	v_pk_mul_f32 v[30:31], v[64:65], v[30:31]                  // 000000009464: D3B1401E 18023D40
	v_mul_f32_dpp v28, v67, v28 row_newbcast:12 row_mask:0xf bank_mask:0xf// 00000000946C: 0A3838FA FF015C43
	v_mul_f32_dpp v29, v67, v29 row_newbcast:13 row_mask:0xf bank_mask:0xf// 000000009474: 0A3A3AFA FF015D43
	v_mul_f32_dpp v30, v67, v30 row_newbcast:14 row_mask:0xf bank_mask:0xf// 00000000947C: 0A3C3CFA FF015E43
	v_mul_f32_dpp v31, v67, v31 row_newbcast:15 row_mask:0xf bank_mask:0xf// 000000009484: 0A3E3EFA FF015F43
	buffer_load_dwordx4 a[16:19], v110, s[12:15], 0 offen offset:2048// 00000000948C: E05C1800 8083106E
	v_add_u32_e32 v72, s64, v106                               // 000000009494: 6890D440
	v_add_u32_e32 v73, 0, v72                                  // 000000009498: 68929080
	v_cmp_lt_u32_e64 s[98:99], v73, v105                       // 00000000949C: D0C90062 0002D349
	s_nop 0                                                    // 0000000094A4: BF800000
	v_cndmask_b32_e64 v16, v107, v16, s[98:99]                 // 0000000094A8: D1000010 018A216B
	v_add_u32_e32 v73, 1, v72                                  // 0000000094B0: 68929081
	v_cmp_lt_u32_e64 s[98:99], v73, v105                       // 0000000094B4: D0C90062 0002D349
	s_nop 0                                                    // 0000000094BC: BF800000
	v_cndmask_b32_e64 v17, v107, v17, s[98:99]                 // 0000000094C0: D1000011 018A236B
	v_add_u32_e32 v73, 2, v72                                  // 0000000094C8: 68929082
	v_cmp_lt_u32_e64 s[98:99], v73, v105                       // 0000000094CC: D0C90062 0002D349
	s_nop 0                                                    // 0000000094D4: BF800000
	v_cndmask_b32_e64 v18, v107, v18, s[98:99]                 // 0000000094D8: D1000012 018A256B
	v_add_u32_e32 v73, 3, v72                                  // 0000000094E0: 68929083
	v_cmp_lt_u32_e64 s[98:99], v73, v105                       // 0000000094E4: D0C90062 0002D349
	s_nop 0                                                    // 0000000094EC: BF800000
	v_cndmask_b32_e64 v19, v107, v19, s[98:99]                 // 0000000094F0: D1000013 018A276B
	v_add_u32_e32 v73, 64, v72                                 // 0000000094F8: 689290C0
	v_cmp_lt_u32_e64 s[98:99], v73, v105                       // 0000000094FC: D0C90062 0002D349
	s_nop 0                                                    // 000000009504: BF800000
	v_cndmask_b32_e64 v20, v107, v20, s[98:99]                 // 000000009508: D1000014 018A296B
	v_add_u32_e32 v73, 0x41, v72                               // 000000009510: 689290FF 00000041
	v_cmp_lt_u32_e64 s[98:99], v73, v105                       // 000000009518: D0C90062 0002D349
	s_nop 0                                                    // 000000009520: BF800000
	v_cndmask_b32_e64 v21, v107, v21, s[98:99]                 // 000000009524: D1000015 018A2B6B
	v_add_u32_e32 v73, 0x42, v72                               // 00000000952C: 689290FF 00000042
	v_cmp_lt_u32_e64 s[98:99], v73, v105                       // 000000009534: D0C90062 0002D349
	s_nop 0                                                    // 00000000953C: BF800000
	v_cndmask_b32_e64 v22, v107, v22, s[98:99]                 // 000000009540: D1000016 018A2D6B
	v_add_u32_e32 v73, 0x43, v72                               // 000000009548: 689290FF 00000043
	v_cmp_lt_u32_e64 s[98:99], v73, v105                       // 000000009550: D0C90062 0002D349
	s_nop 0                                                    // 000000009558: BF800000
	v_cndmask_b32_e64 v23, v107, v23, s[98:99]                 // 00000000955C: D1000017 018A2F6B
	v_add_u32_e32 v73, 0x80, v72                               // 000000009564: 689290FF 00000080
	v_cmp_lt_u32_e64 s[98:99], v73, v105                       // 00000000956C: D0C90062 0002D349
	s_nop 0                                                    // 000000009574: BF800000
	v_cndmask_b32_e64 v24, v107, v24, s[98:99]                 // 000000009578: D1000018 018A316B
	v_add_u32_e32 v73, 0x81, v72                               // 000000009580: 689290FF 00000081
	v_cmp_lt_u32_e64 s[98:99], v73, v105                       // 000000009588: D0C90062 0002D349
	s_nop 0                                                    // 000000009590: BF800000
	v_cndmask_b32_e64 v25, v107, v25, s[98:99]                 // 000000009594: D1000019 018A336B
	v_add_u32_e32 v73, 0x82, v72                               // 00000000959C: 689290FF 00000082
	v_cmp_lt_u32_e64 s[98:99], v73, v105                       // 0000000095A4: D0C90062 0002D349
	s_nop 0                                                    // 0000000095AC: BF800000
	v_cndmask_b32_e64 v26, v107, v26, s[98:99]                 // 0000000095B0: D100001A 018A356B
	v_add_u32_e32 v73, 0x83, v72                               // 0000000095B8: 689290FF 00000083
	v_cmp_lt_u32_e64 s[98:99], v73, v105                       // 0000000095C0: D0C90062 0002D349
	s_nop 0                                                    // 0000000095C8: BF800000
	v_cndmask_b32_e64 v27, v107, v27, s[98:99]                 // 0000000095CC: D100001B 018A376B
	v_add_u32_e32 v73, 0xc0, v72                               // 0000000095D4: 689290FF 000000C0
	v_cmp_lt_u32_e64 s[98:99], v73, v105                       // 0000000095DC: D0C90062 0002D349
	s_nop 0                                                    // 0000000095E4: BF800000
	v_cndmask_b32_e64 v28, v107, v28, s[98:99]                 // 0000000095E8: D100001C 018A396B
	v_add_u32_e32 v73, 0xc1, v72                               // 0000000095F0: 689290FF 000000C1
	v_cmp_lt_u32_e64 s[98:99], v73, v105                       // 0000000095F8: D0C90062 0002D349
	s_nop 0                                                    // 000000009600: BF800000
	v_cndmask_b32_e64 v29, v107, v29, s[98:99]                 // 000000009604: D100001D 018A3B6B
	v_add_u32_e32 v73, 0xc2, v72                               // 00000000960C: 689290FF 000000C2
	v_cmp_lt_u32_e64 s[98:99], v73, v105                       // 000000009614: D0C90062 0002D349
	s_nop 0                                                    // 00000000961C: BF800000
	v_cndmask_b32_e64 v30, v107, v30, s[98:99]                 // 000000009620: D100001E 018A3D6B
	v_add_u32_e32 v73, 0xc3, v72                               // 000000009628: 689290FF 000000C3
	v_cmp_lt_u32_e64 s[98:99], v73, v105                       // 000000009630: D0C90062 0002D349
	s_nop 0                                                    // 000000009638: BF800000
	v_cndmask_b32_e64 v31, v107, v31, s[98:99]                 // 00000000963C: D100001F 018A3F6B
	v_mov_b32_e32 v92, v16                                     // 000000009644: 7EB80310
	v_max3_f32 v92, v16, v17, v92                              // 000000009648: D1D3005C 05722310
	v_max3_f32 v92, v18, v19, v92                              // 000000009650: D1D3005C 05722712
	v_max3_f32 v92, v20, v21, v92                              // 000000009658: D1D3005C 05722B14
	v_max3_f32 v92, v22, v23, v92                              // 000000009660: D1D3005C 05722F16
	v_max3_f32 v92, v24, v25, v92                              // 000000009668: D1D3005C 05723318
	v_max3_f32 v92, v26, v27, v92                              // 000000009670: D1D3005C 0572371A
	v_max3_f32 v92, v28, v29, v92                              // 000000009678: D1D3005C 05723B1C
	v_max3_f32 v92, v30, v31, v92                              // 000000009680: D1D3005C 05723F1E
	ds_write_b32 v128, v92                                     // 000000009688: D81A0000 00005C80
	v_pk_mul_f32 v[56:57], v[94:95], v[56:57]                  // 000000009690: D3B14038 1802715E
	v_pk_mul_f32 v[58:59], v[94:95], v[58:59]                  // 000000009698: D3B1403A 1802755E
	v_pk_mul_f32 v[60:61], v[94:95], v[60:61]                  // 0000000096A0: D3B1403C 1802795E
	v_pk_mul_f32 v[62:63], v[94:95], v[62:63]                  // 0000000096A8: D3B1403E 18027D5E
	buffer_load_dwordx4 a[20:23], v111, s[12:15], 0 offen offset:2048// 0000000096B0: E05C1800 8083146F
	s_waitcnt lgkmcnt(0)                                       // 0000000096B8: BF8CC07F
	s_barrier                                                  // 0000000096BC: BF8A0000
	ds_read_b32 v76, v129                                      // 0000000096C0: D86C0000 4C000081
	ds_read_b32 v77, v129 offset:64                            // 0000000096C8: D86C0040 4D000081
	ds_read_b32 v78, v129 offset:128                           // 0000000096D0: D86C0080 4E000081
	ds_read_b32 v79, v129 offset:192                           // 0000000096D8: D86C00C0 4F000081
	ds_read_b32 v80, v129 offset:256                           // 0000000096E0: D86C0100 50000081
	ds_read_b32 v81, v129 offset:320                           // 0000000096E8: D86C0140 51000081
	ds_read_b32 v82, v129 offset:384                           // 0000000096F0: D86C0180 52000081
	ds_read_b32 v83, v129 offset:448                           // 0000000096F8: D86C01C0 53000081
	ds_read_b32 v84, v129 offset:512                           // 000000009700: D86C0200 54000081
	ds_read_b32 v85, v129 offset:576                           // 000000009708: D86C0240 55000081
	ds_read_b32 v86, v129 offset:640                           // 000000009710: D86C0280 56000081
	ds_read_b32 v87, v129 offset:704                           // 000000009718: D86C02C0 57000081
	ds_read_b32 v88, v129 offset:768                           // 000000009720: D86C0300 58000081
	ds_read_b32 v89, v129 offset:832                           // 000000009728: D86C0340 59000081
	ds_read_b32 v90, v129 offset:896                           // 000000009730: D86C0380 5A000081
	ds_read_b32 v91, v129 offset:960                           // 000000009738: D86C03C0 5B000081
	buffer_load_dwordx4 a[28:31], v111, s[12:15], 0 offen offset:3072// 000000009740: E05C1C00 80831C6F
	v_pk_mul_f32 v[48:49], v[70:71], v[48:49]                  // 000000009748: D3B14030 18026146
	v_pk_mul_f32 v[50:51], v[70:71], v[50:51]                  // 000000009750: D3B14032 18026546
	v_pk_mul_f32 v[52:53], v[70:71], v[52:53]                  // 000000009758: D3B14034 18026946
	v_pk_mul_f32 v[54:55], v[70:71], v[54:55]                  // 000000009760: D3B14036 18026D46
	buffer_load_dwordx4 a[24:27], v110, s[12:15], 0 offen offset:3072// 000000009768: E05C1C00 8083186E
	s_waitcnt lgkmcnt(0)                                       // 000000009770: BF8CC07F
	v_max3_f32 v92, v76, v77, v92                              // 000000009774: D1D3005C 05729B4C
	v_max3_f32 v92, v78, v79, v92                              // 00000000977C: D1D3005C 05729F4E
	v_max3_f32 v92, v80, v81, v92                              // 000000009784: D1D3005C 0572A350
	v_max3_f32 v92, v82, v83, v92                              // 00000000978C: D1D3005C 0572A752
	v_max3_f32 v92, v84, v85, v92                              // 000000009794: D1D3005C 0572AB54
	v_max3_f32 v92, v86, v87, v92                              // 00000000979C: D1D3005C 0572AF56
	v_max3_f32 v92, v88, v89, v92                              // 0000000097A4: D1D3005C 0572B358
	v_max3_f32 v92, v90, v91, v92                              // 0000000097AC: D1D3005C 0572B75A
	v_max_f32_e32 v97, v92, v96                                // 0000000097B4: 16C2C15C
	v_mul_f32_e64 v72, -s46, v97                               // 0000000097B8: D1050048 2002C22E
	v_mov_b32_e32 v73, v72                                     // 0000000097C0: 7E920348
	v_pk_fma_f32 v[16:17], v[16:17], s[46:47], v[72:73]        // 0000000097C4: D3B04010 1D205D10
	v_pk_fma_f32 v[18:19], v[18:19], s[46:47], v[72:73]        // 0000000097CC: D3B04012 1D205D12
	v_exp_f32_e32 v16, v16                                     // 0000000097D4: 7E204110
	v_exp_f32_e32 v17, v17                                     // 0000000097D8: 7E224111
	v_exp_f32_e32 v18, v18                                     // 0000000097DC: 7E244112
	v_exp_f32_e32 v19, v19                                     // 0000000097E0: 7E264113
	v_pk_fma_f32 v[20:21], v[20:21], s[46:47], v[72:73]        // 0000000097E4: D3B04014 1D205D14
	v_pk_fma_f32 v[22:23], v[22:23], s[46:47], v[72:73]        // 0000000097EC: D3B04016 1D205D16
	v_exp_f32_e32 v20, v20                                     // 0000000097F4: 7E284114
	v_exp_f32_e32 v21, v21                                     // 0000000097F8: 7E2A4115
	v_exp_f32_e32 v22, v22                                     // 0000000097FC: 7E2C4116
	v_exp_f32_e32 v23, v23                                     // 000000009800: 7E2E4117
	v_pk_fma_f32 v[24:25], v[24:25], s[46:47], v[72:73]        // 000000009804: D3B04018 1D205D18
	v_pk_fma_f32 v[26:27], v[26:27], s[46:47], v[72:73]        // 00000000980C: D3B0401A 1D205D1A
	v_exp_f32_e32 v24, v24                                     // 000000009814: 7E304118
	v_exp_f32_e32 v25, v25                                     // 000000009818: 7E324119
	v_exp_f32_e32 v26, v26                                     // 00000000981C: 7E34411A
	v_exp_f32_e32 v27, v27                                     // 000000009820: 7E36411B
	v_pk_fma_f32 v[28:29], v[28:29], s[46:47], v[72:73]        // 000000009824: D3B0401C 1D205D1C
	v_pk_fma_f32 v[30:31], v[30:31], s[46:47], v[72:73]        // 00000000982C: D3B0401E 1D205D1E
	v_exp_f32_e32 v28, v28                                     // 000000009834: 7E38411C
	v_exp_f32_e32 v29, v29                                     // 000000009838: 7E3A411D
	v_exp_f32_e32 v30, v30                                     // 00000000983C: 7E3C411E
	v_exp_f32_e32 v31, v31                                     // 000000009840: 7E3E411F
	v_mul_f32_dpp v32, v69, v16 row_newbcast:0 row_mask:0xf bank_mask:0xf// 000000009844: 0A4020FA FF015045
	v_mul_f32_dpp v33, v69, v17 row_newbcast:1 row_mask:0xf bank_mask:0xf// 00000000984C: 0A4222FA FF015145
	v_mul_f32_dpp v34, v69, v18 row_newbcast:2 row_mask:0xf bank_mask:0xf// 000000009854: 0A4424FA FF015245
	v_mul_f32_dpp v35, v69, v19 row_newbcast:3 row_mask:0xf bank_mask:0xf// 00000000985C: 0A4626FA FF015345
	v_mul_f32_dpp v36, v69, v20 row_newbcast:4 row_mask:0xf bank_mask:0xf// 000000009864: 0A4828FA FF015445
	v_mul_f32_dpp v37, v69, v21 row_newbcast:5 row_mask:0xf bank_mask:0xf// 00000000986C: 0A4A2AFA FF015545
	v_mul_f32_dpp v38, v69, v22 row_newbcast:6 row_mask:0xf bank_mask:0xf// 000000009874: 0A4C2CFA FF015645
	v_mul_f32_dpp v39, v69, v23 row_newbcast:7 row_mask:0xf bank_mask:0xf// 00000000987C: 0A4E2EFA FF015745
	v_mul_f32_dpp v40, v69, v24 row_newbcast:8 row_mask:0xf bank_mask:0xf// 000000009884: 0A5030FA FF015845
	v_mul_f32_dpp v41, v69, v25 row_newbcast:9 row_mask:0xf bank_mask:0xf// 00000000988C: 0A5232FA FF015945
	v_mul_f32_dpp v42, v69, v26 row_newbcast:10 row_mask:0xf bank_mask:0xf// 000000009894: 0A5434FA FF015A45
	v_mul_f32_dpp v43, v69, v27 row_newbcast:11 row_mask:0xf bank_mask:0xf// 00000000989C: 0A5636FA FF015B45
	v_mul_f32_dpp v44, v69, v28 row_newbcast:12 row_mask:0xf bank_mask:0xf// 0000000098A4: 0A5838FA FF015C45
	v_mul_f32_dpp v45, v69, v29 row_newbcast:13 row_mask:0xf bank_mask:0xf// 0000000098AC: 0A5A3AFA FF015D45
	v_mul_f32_dpp v46, v69, v30 row_newbcast:14 row_mask:0xf bank_mask:0xf// 0000000098B4: 0A5C3CFA FF015E45
	v_mul_f32_dpp v47, v69, v31 row_newbcast:15 row_mask:0xf bank_mask:0xf// 0000000098BC: 0A5E3EFA FF015F45
	v_add_u32_e32 v72, s64, v106                               // 0000000098C4: 6890D440
	v_add_u32_e32 v73, 0, v72                                  // 0000000098C8: 68929080
	v_cmp_lt_u32_e32 vcc, v73, v105                            // 0000000098CC: 7D92D349
	v_cndmask_b32_e32 v32, 0, v32, vcc                         // 0000000098D0: 00404080
	v_add_u32_e32 v73, 1, v72                                  // 0000000098D4: 68929081
	v_cmp_lt_u32_e32 vcc, v73, v105                            // 0000000098D8: 7D92D349
	v_cndmask_b32_e32 v33, 0, v33, vcc                         // 0000000098DC: 00424280
	v_add_u32_e32 v73, 2, v72                                  // 0000000098E0: 68929082
	v_cmp_lt_u32_e32 vcc, v73, v105                            // 0000000098E4: 7D92D349
	v_cndmask_b32_e32 v34, 0, v34, vcc                         // 0000000098E8: 00444480
	v_add_u32_e32 v73, 3, v72                                  // 0000000098EC: 68929083
	v_cmp_lt_u32_e32 vcc, v73, v105                            // 0000000098F0: 7D92D349
	v_cndmask_b32_e32 v35, 0, v35, vcc                         // 0000000098F4: 00464680
	v_add_u32_e32 v73, 64, v72                                 // 0000000098F8: 689290C0
	v_cmp_lt_u32_e32 vcc, v73, v105                            // 0000000098FC: 7D92D349
	v_cndmask_b32_e32 v36, 0, v36, vcc                         // 000000009900: 00484880
	v_add_u32_e32 v73, 0x41, v72                               // 000000009904: 689290FF 00000041
	v_cmp_lt_u32_e32 vcc, v73, v105                            // 00000000990C: 7D92D349
	v_cndmask_b32_e32 v37, 0, v37, vcc                         // 000000009910: 004A4A80
	v_add_u32_e32 v73, 0x42, v72                               // 000000009914: 689290FF 00000042
	v_cmp_lt_u32_e32 vcc, v73, v105                            // 00000000991C: 7D92D349
	v_cndmask_b32_e32 v38, 0, v38, vcc                         // 000000009920: 004C4C80
	v_add_u32_e32 v73, 0x43, v72                               // 000000009924: 689290FF 00000043
	v_cmp_lt_u32_e32 vcc, v73, v105                            // 00000000992C: 7D92D349
	v_cndmask_b32_e32 v39, 0, v39, vcc                         // 000000009930: 004E4E80
	v_add_u32_e32 v73, 0x80, v72                               // 000000009934: 689290FF 00000080
	v_cmp_lt_u32_e32 vcc, v73, v105                            // 00000000993C: 7D92D349
	v_cndmask_b32_e32 v40, 0, v40, vcc                         // 000000009940: 00505080
	v_add_u32_e32 v73, 0x81, v72                               // 000000009944: 689290FF 00000081
	v_cmp_lt_u32_e32 vcc, v73, v105                            // 00000000994C: 7D92D349
	v_cndmask_b32_e32 v41, 0, v41, vcc                         // 000000009950: 00525280
	v_add_u32_e32 v73, 0x82, v72                               // 000000009954: 689290FF 00000082
	v_cmp_lt_u32_e32 vcc, v73, v105                            // 00000000995C: 7D92D349
	v_cndmask_b32_e32 v42, 0, v42, vcc                         // 000000009960: 00545480
	v_add_u32_e32 v73, 0x83, v72                               // 000000009964: 689290FF 00000083
	v_cmp_lt_u32_e32 vcc, v73, v105                            // 00000000996C: 7D92D349
	v_cndmask_b32_e32 v43, 0, v43, vcc                         // 000000009970: 00565680
	v_add_u32_e32 v73, 0xc0, v72                               // 000000009974: 689290FF 000000C0
	v_cmp_lt_u32_e32 vcc, v73, v105                            // 00000000997C: 7D92D349
	v_cndmask_b32_e32 v44, 0, v44, vcc                         // 000000009980: 00585880
	v_add_u32_e32 v73, 0xc1, v72                               // 000000009984: 689290FF 000000C1
	v_cmp_lt_u32_e32 vcc, v73, v105                            // 00000000998C: 7D92D349
	v_cndmask_b32_e32 v45, 0, v45, vcc                         // 000000009990: 005A5A80
	v_add_u32_e32 v73, 0xc2, v72                               // 000000009994: 689290FF 000000C2
	v_cmp_lt_u32_e32 vcc, v73, v105                            // 00000000999C: 7D92D349
	v_cndmask_b32_e32 v46, 0, v46, vcc                         // 0000000099A0: 005C5C80
	v_add_u32_e32 v73, 0xc3, v72                               // 0000000099A4: 689290FF 000000C3
	v_cmp_lt_u32_e32 vcc, v73, v105                            // 0000000099AC: 7D92D349
	v_cndmask_b32_e32 v47, 0, v47, vcc                         // 0000000099B0: 005E5E80
	buffer_load_dword v66, v116, s[20:23], 0 offen             // 0000000099B4: E0501000 80054274
	v_sub_f32_e32 v94, v96, v97                                // 0000000099BC: 04BCC360
	v_cmp_eq_u32_e64 s[98:99], v107, v96                       // 0000000099C0: D0CA0062 0002C16B
	s_nop 0                                                    // 0000000099C8: BF800000
	v_cndmask_b32_e64 v94, v94, 0, s[98:99]                    // 0000000099CC: D100005E 0189015E
	v_mov_b32_e32 v96, v97                                     // 0000000099D4: 7EC00361
	v_mul_f32_e32 v94, s46, v94                                // 0000000099D8: 0ABCBC2E
	v_exp_f32_e32 v94, v94                                     // 0000000099DC: 7EBC415E
	s_nop 0                                                    // 0000000099E0: BF800000
	v_mov_b32_e32 v95, v94                                     // 0000000099E4: 7EBE035E
	buffer_load_dword v68, v117, s[24:27], 0 offen             // 0000000099E8: E0501000 80064475
	s_waitcnt lgkmcnt(0)                                       // 0000000099F0: BF8CC07F
	s_barrier                                                  // 0000000099F4: BF8A0000
	buffer_load_dwordx4 a[64:67], v112, s[16:19], 0 offen      // 0000000099F8: E05C1000 80844070
	v_mul_f32_e32 v98, v94, v98                                // 000000009A00: 0AC4C55E
	v_add_f32_e32 v98, v16, v98                                // 000000009A04: 02C4C510
	v_add_f32_e32 v98, v17, v98                                // 000000009A08: 02C4C511
	v_add_f32_e32 v98, v18, v98                                // 000000009A0C: 02C4C512
	v_add_f32_e32 v98, v19, v98                                // 000000009A10: 02C4C513
	v_add_f32_e32 v98, v20, v98                                // 000000009A14: 02C4C514
	v_add_f32_e32 v98, v21, v98                                // 000000009A18: 02C4C515
	v_add_f32_e32 v98, v22, v98                                // 000000009A1C: 02C4C516
	v_add_f32_e32 v98, v23, v98                                // 000000009A20: 02C4C517
	v_add_f32_e32 v98, v24, v98                                // 000000009A24: 02C4C518
	v_add_f32_e32 v98, v25, v98                                // 000000009A28: 02C4C519
	v_add_f32_e32 v98, v26, v98                                // 000000009A2C: 02C4C51A
	v_add_f32_e32 v98, v27, v98                                // 000000009A30: 02C4C51B
	v_add_f32_e32 v98, v28, v98                                // 000000009A34: 02C4C51C
	v_add_f32_e32 v98, v29, v98                                // 000000009A38: 02C4C51D
	v_add_f32_e32 v98, v30, v98                                // 000000009A3C: 02C4C51E
	v_add_f32_e32 v98, v31, v98                                // 000000009A40: 02C4C51F
	buffer_load_dwordx4 a[68:71], v113, s[16:19], 0 offen      // 000000009A44: E05C1000 80844471
	s_waitcnt lgkmcnt(0)                                       // 000000009A4C: BF8CC07F
	v_sub_f32_e32 v92, v92, v96                                // 000000009A50: 04B8C15C
	v_mul_f32_e32 v92, s46, v92                                // 000000009A54: 0AB8B82E
	v_exp_f32_e32 v92, v92                                     // 000000009A58: 7EB8415C
	s_nop 0                                                    // 000000009A5C: BF800000
	v_mul_f32_e32 v92, v69, v92                                // 000000009A60: 0AB8B945
	v_add_f32_e32 v92, 0x3089705f, v92                         // 000000009A64: 02B8B8FF 3089705F
	v_rcp_f32_e32 v92, v92                                     // 000000009A6C: 7EB8455C
	s_nop 0                                                    // 000000009A70: BF800000
	v_mul_f32_e32 v92, 0x43700000, v92                         // 000000009A74: 0AB8B8FF 43700000
	v_mov_b32_e32 v93, v92                                     // 000000009A7C: 7EBA035C
	v_pk_mul_f32 v[16:17], v[92:93], v[32:33]                  // 000000009A80: D3B14010 1802415C
	v_pk_mul_f32 v[18:19], v[92:93], v[34:35]                  // 000000009A88: D3B14012 1802455C
	v_pk_mul_f32 v[20:21], v[92:93], v[36:37]                  // 000000009A90: D3B14014 1802495C
	v_pk_mul_f32 v[22:23], v[92:93], v[38:39]                  // 000000009A98: D3B14016 18024D5C
	v_pk_mul_f32 v[24:25], v[92:93], v[40:41]                  // 000000009AA0: D3B14018 1802515C
	v_pk_mul_f32 v[26:27], v[92:93], v[42:43]                  // 000000009AA8: D3B1401A 1802555C
	v_pk_mul_f32 v[28:29], v[92:93], v[44:45]                  // 000000009AB0: D3B1401C 1802595C
	v_pk_mul_f32 v[30:31], v[92:93], v[46:47]                  // 000000009AB8: D3B1401E 18025D5C
	v_cvt_pk_fp8_f32 v16, v16, v17                             // 000000009AC0: D2A20010 00022310
	v_cvt_pk_fp8_f32 v16, v18, v19 op_sel:[0,0,1]              // 000000009AC8: D2A24010 00022712
	v_cvt_pk_fp8_f32 v17, v20, v21                             // 000000009AD0: D2A20011 00022B14
	v_cvt_pk_fp8_f32 v17, v22, v23 op_sel:[0,0,1]              // 000000009AD8: D2A24011 00022F16
	v_cvt_pk_fp8_f32 v18, v24, v25                             // 000000009AE0: D2A20012 00023318
	v_cvt_pk_fp8_f32 v18, v26, v27 op_sel:[0,0,1]              // 000000009AE8: D2A24012 0002371A
	v_cvt_pk_fp8_f32 v19, v28, v29                             // 000000009AF0: D2A20013 00023B1C
	v_cvt_pk_fp8_f32 v19, v30, v31 op_sel:[0,0,1]              // 000000009AF8: D2A24013 00023F1E
	ds_write_b32 v130, v16 offset:2560                         // 000000009B00: D81A0A00 00001082
	ds_write_b32 v130, v17 offset:3584                         // 000000009B08: D81A0E00 00001182
	ds_write_b32 v130, v18 offset:4608                         // 000000009B10: D81A1200 00001282
	ds_write_b32 v130, v19 offset:5632                         // 000000009B18: D81A1600 00001382
	v_rcp_f32_e32 v70, v92                                     // 000000009B20: 7E8C455C
	s_nop 0                                                    // 000000009B24: BF800000
	v_mov_b32_e32 v71, v70                                     // 000000009B28: 7E8E0346
	buffer_load_dwordx4 a[72:75], v114, s[16:19], 0 offen      // 000000009B2C: E05C1000 80844872
	v_pk_add_f32 v[56:57], v[56:57], v[48:49]                  // 000000009B34: D3B24038 18026138
	v_pk_add_f32 v[58:59], v[58:59], v[50:51]                  // 000000009B3C: D3B2403A 1802653A
	v_pk_add_f32 v[60:61], v[60:61], v[52:53]                  // 000000009B44: D3B2403C 1802693C
	v_pk_add_f32 v[62:63], v[62:63], v[54:55]                  // 000000009B4C: D3B2403E 18026D3E
	s_waitcnt lgkmcnt(0)                                       // 000000009B54: BF8CC07F
	s_barrier                                                  // 000000009B58: BF8A0000
	ds_read_b128 v[16:19], v131 offset:2560                    // 000000009B5C: D9FE0A00 10000083
	ds_read_b128 v[20:23], v131 offset:3584                    // 000000009B64: D9FE0E00 14000083
	ds_read_b128 v[24:27], v131 offset:4608                    // 000000009B6C: D9FE1200 18000083
	ds_read_b128 v[28:31], v131 offset:5632                    // 000000009B74: D9FE1600 1C000083
	buffer_load_dwordx4 a[76:79], v115, s[16:19], 0 offen      // 000000009B7C: E05C1000 80844C73
	s_waitcnt vmcnt(14)                                        // 000000009B84: BF8C0F7E
	v_lshrrev_b32_e32 v100, 4, v0                              // 000000009B88: 20C80084
	v_lshlrev_b32_e32 v100, 4, v100                            // 000000009B8C: 24C8C884
	v_add_u32_e32 v72, s64, v100                               // 000000009B90: 6890C840
	v_add_u32_e32 v72, 4, v72                                  // 000000009B94: 68909084
	v_sub_i32 v72, v72, s62                                    // 000000009B98: D29D0048 00007D48
	s_mov_b32 s54, 0                                           // 000000009BA0: BEB60080
	v_add_i32 v73, s54, v72                                    // 000000009BA4: D29C0049 00029036
	v_cmp_lt_i32_e64 vcc, v73, 4                               // 000000009BAC: D0C1006A 00010949
	v_min_u32_e32 v73, 4, v73                                  // 000000009BB4: 1C929284
	v_lshlrev_b32_e32 v73, 3, v73                              // 000000009BB8: 24929283
	v_lshrrev_b32_e64 v74, v73, -1                             // 000000009BBC: D110004A 00018349
	v_accvgpr_read_b32 v75, a96                                // 000000009BC4: D3D8404B 18000160
	v_cndmask_b32_e32 v75, 0, v75, vcc                         // 000000009BCC: 00969680
	v_and_b32_e32 v75, v75, v74                                // 000000009BD0: 2696954B
	v_accvgpr_write_b32 a96, v75                               // 000000009BD4: D3D94060 1800014B
	v_accvgpr_read_b32 v75, a112                               // 000000009BDC: D3D8404B 18000170
	v_cndmask_b32_e32 v75, 0, v75, vcc                         // 000000009BE4: 00969680
	v_and_b32_e32 v75, v75, v74                                // 000000009BE8: 2696954B
	v_accvgpr_write_b32 a112, v75                              // 000000009BEC: D3D94070 1800014B
	s_mov_b32 s54, 4                                           // 000000009BF4: BEB60084
	v_add_i32 v73, s54, v72                                    // 000000009BF8: D29C0049 00029036
	v_cmp_lt_i32_e64 vcc, v73, 4                               // 000000009C00: D0C1006A 00010949
	v_min_u32_e32 v73, 4, v73                                  // 000000009C08: 1C929284
	v_lshlrev_b32_e32 v73, 3, v73                              // 000000009C0C: 24929283
	v_lshrrev_b32_e64 v74, v73, -1                             // 000000009C10: D110004A 00018349
	v_accvgpr_read_b32 v75, a97                                // 000000009C18: D3D8404B 18000161
	v_cndmask_b32_e32 v75, 0, v75, vcc                         // 000000009C20: 00969680
	v_and_b32_e32 v75, v75, v74                                // 000000009C24: 2696954B
	v_accvgpr_write_b32 a97, v75                               // 000000009C28: D3D94061 1800014B
	v_accvgpr_read_b32 v75, a113                               // 000000009C30: D3D8404B 18000171
	v_cndmask_b32_e32 v75, 0, v75, vcc                         // 000000009C38: 00969680
	v_and_b32_e32 v75, v75, v74                                // 000000009C3C: 2696954B
	v_accvgpr_write_b32 a113, v75                              // 000000009C40: D3D94071 1800014B
	s_mov_b32 s54, 8                                           // 000000009C48: BEB60088
	v_add_i32 v73, s54, v72                                    // 000000009C4C: D29C0049 00029036
	v_cmp_lt_i32_e64 vcc, v73, 4                               // 000000009C54: D0C1006A 00010949
	v_min_u32_e32 v73, 4, v73                                  // 000000009C5C: 1C929284
	v_lshlrev_b32_e32 v73, 3, v73                              // 000000009C60: 24929283
	v_lshrrev_b32_e64 v74, v73, -1                             // 000000009C64: D110004A 00018349
	v_accvgpr_read_b32 v75, a98                                // 000000009C6C: D3D8404B 18000162
	v_cndmask_b32_e32 v75, 0, v75, vcc                         // 000000009C74: 00969680
	v_and_b32_e32 v75, v75, v74                                // 000000009C78: 2696954B
	v_accvgpr_write_b32 a98, v75                               // 000000009C7C: D3D94062 1800014B
	v_accvgpr_read_b32 v75, a114                               // 000000009C84: D3D8404B 18000172
	v_cndmask_b32_e32 v75, 0, v75, vcc                         // 000000009C8C: 00969680
	v_and_b32_e32 v75, v75, v74                                // 000000009C90: 2696954B
	v_accvgpr_write_b32 a114, v75                              // 000000009C94: D3D94072 1800014B
	s_mov_b32 s54, 12                                          // 000000009C9C: BEB6008C
	v_add_i32 v73, s54, v72                                    // 000000009CA0: D29C0049 00029036
	v_cmp_lt_i32_e64 vcc, v73, 4                               // 000000009CA8: D0C1006A 00010949
	v_min_u32_e32 v73, 4, v73                                  // 000000009CB0: 1C929284
	v_lshlrev_b32_e32 v73, 3, v73                              // 000000009CB4: 24929283
	v_lshrrev_b32_e64 v74, v73, -1                             // 000000009CB8: D110004A 00018349
	v_accvgpr_read_b32 v75, a99                                // 000000009CC0: D3D8404B 18000163
	v_cndmask_b32_e32 v75, 0, v75, vcc                         // 000000009CC8: 00969680
	v_and_b32_e32 v75, v75, v74                                // 000000009CCC: 2696954B
	v_accvgpr_write_b32 a99, v75                               // 000000009CD0: D3D94063 1800014B
	v_accvgpr_read_b32 v75, a115                               // 000000009CD8: D3D8404B 18000173
	v_cndmask_b32_e32 v75, 0, v75, vcc                         // 000000009CE0: 00969680
	v_and_b32_e32 v75, v75, v74                                // 000000009CE4: 2696954B
	v_accvgpr_write_b32 a115, v75                              // 000000009CE8: D3D94073 1800014B
	s_mov_b32 s54, 64                                          // 000000009CF0: BEB600C0
	v_add_i32 v73, s54, v72                                    // 000000009CF4: D29C0049 00029036
	v_cmp_lt_i32_e64 vcc, v73, 4                               // 000000009CFC: D0C1006A 00010949
	v_min_u32_e32 v73, 4, v73                                  // 000000009D04: 1C929284
	v_lshlrev_b32_e32 v73, 3, v73                              // 000000009D08: 24929283
	v_lshrrev_b32_e64 v74, v73, -1                             // 000000009D0C: D110004A 00018349
	v_accvgpr_read_b32 v75, a100                               // 000000009D14: D3D8404B 18000164
	v_cndmask_b32_e32 v75, 0, v75, vcc                         // 000000009D1C: 00969680
	v_and_b32_e32 v75, v75, v74                                // 000000009D20: 2696954B
	v_accvgpr_write_b32 a100, v75                              // 000000009D24: D3D94064 1800014B
	v_accvgpr_read_b32 v75, a116                               // 000000009D2C: D3D8404B 18000174
	v_cndmask_b32_e32 v75, 0, v75, vcc                         // 000000009D34: 00969680
	v_and_b32_e32 v75, v75, v74                                // 000000009D38: 2696954B
	v_accvgpr_write_b32 a116, v75                              // 000000009D3C: D3D94074 1800014B
	s_mov_b32 s54, 0x44                                        // 000000009D44: BEB600FF 00000044
	v_add_i32 v73, s54, v72                                    // 000000009D4C: D29C0049 00029036
	v_cmp_lt_i32_e64 vcc, v73, 4                               // 000000009D54: D0C1006A 00010949
	v_min_u32_e32 v73, 4, v73                                  // 000000009D5C: 1C929284
	v_lshlrev_b32_e32 v73, 3, v73                              // 000000009D60: 24929283
	v_lshrrev_b32_e64 v74, v73, -1                             // 000000009D64: D110004A 00018349
	v_accvgpr_read_b32 v75, a101                               // 000000009D6C: D3D8404B 18000165
	v_cndmask_b32_e32 v75, 0, v75, vcc                         // 000000009D74: 00969680
	v_and_b32_e32 v75, v75, v74                                // 000000009D78: 2696954B
	v_accvgpr_write_b32 a101, v75                              // 000000009D7C: D3D94065 1800014B
	v_accvgpr_read_b32 v75, a117                               // 000000009D84: D3D8404B 18000175
	v_cndmask_b32_e32 v75, 0, v75, vcc                         // 000000009D8C: 00969680
	v_and_b32_e32 v75, v75, v74                                // 000000009D90: 2696954B
	v_accvgpr_write_b32 a117, v75                              // 000000009D94: D3D94075 1800014B
	s_mov_b32 s54, 0x48                                        // 000000009D9C: BEB600FF 00000048
	v_add_i32 v73, s54, v72                                    // 000000009DA4: D29C0049 00029036
	v_cmp_lt_i32_e64 vcc, v73, 4                               // 000000009DAC: D0C1006A 00010949
	v_min_u32_e32 v73, 4, v73                                  // 000000009DB4: 1C929284
	v_lshlrev_b32_e32 v73, 3, v73                              // 000000009DB8: 24929283
	v_lshrrev_b32_e64 v74, v73, -1                             // 000000009DBC: D110004A 00018349
	v_accvgpr_read_b32 v75, a102                               // 000000009DC4: D3D8404B 18000166
	v_cndmask_b32_e32 v75, 0, v75, vcc                         // 000000009DCC: 00969680
	v_and_b32_e32 v75, v75, v74                                // 000000009DD0: 2696954B
	v_accvgpr_write_b32 a102, v75                              // 000000009DD4: D3D94066 1800014B
	v_accvgpr_read_b32 v75, a118                               // 000000009DDC: D3D8404B 18000176
	v_cndmask_b32_e32 v75, 0, v75, vcc                         // 000000009DE4: 00969680
	v_and_b32_e32 v75, v75, v74                                // 000000009DE8: 2696954B
	v_accvgpr_write_b32 a118, v75                              // 000000009DEC: D3D94076 1800014B
	s_mov_b32 s54, 0x4c                                        // 000000009DF4: BEB600FF 0000004C
	v_add_i32 v73, s54, v72                                    // 000000009DFC: D29C0049 00029036
	v_cmp_lt_i32_e64 vcc, v73, 4                               // 000000009E04: D0C1006A 00010949
	v_min_u32_e32 v73, 4, v73                                  // 000000009E0C: 1C929284
	v_lshlrev_b32_e32 v73, 3, v73                              // 000000009E10: 24929283
	v_lshrrev_b32_e64 v74, v73, -1                             // 000000009E14: D110004A 00018349
	v_accvgpr_read_b32 v75, a103                               // 000000009E1C: D3D8404B 18000167
	v_cndmask_b32_e32 v75, 0, v75, vcc                         // 000000009E24: 00969680
	v_and_b32_e32 v75, v75, v74                                // 000000009E28: 2696954B
	v_accvgpr_write_b32 a103, v75                              // 000000009E2C: D3D94067 1800014B
	v_accvgpr_read_b32 v75, a119                               // 000000009E34: D3D8404B 18000177
	v_cndmask_b32_e32 v75, 0, v75, vcc                         // 000000009E3C: 00969680
	v_and_b32_e32 v75, v75, v74                                // 000000009E40: 2696954B
	v_accvgpr_write_b32 a119, v75                              // 000000009E44: D3D94077 1800014B
	s_mov_b32 s54, 0x80                                        // 000000009E4C: BEB600FF 00000080
	v_add_i32 v73, s54, v72                                    // 000000009E54: D29C0049 00029036
	v_cmp_lt_i32_e64 vcc, v73, 4                               // 000000009E5C: D0C1006A 00010949
	v_min_u32_e32 v73, 4, v73                                  // 000000009E64: 1C929284
	v_lshlrev_b32_e32 v73, 3, v73                              // 000000009E68: 24929283
	v_lshrrev_b32_e64 v74, v73, -1                             // 000000009E6C: D110004A 00018349
	v_accvgpr_read_b32 v75, a104                               // 000000009E74: D3D8404B 18000168
	v_cndmask_b32_e32 v75, 0, v75, vcc                         // 000000009E7C: 00969680
	v_and_b32_e32 v75, v75, v74                                // 000000009E80: 2696954B
	v_accvgpr_write_b32 a104, v75                              // 000000009E84: D3D94068 1800014B
	v_accvgpr_read_b32 v75, a120                               // 000000009E8C: D3D8404B 18000178
	v_cndmask_b32_e32 v75, 0, v75, vcc                         // 000000009E94: 00969680
	v_and_b32_e32 v75, v75, v74                                // 000000009E98: 2696954B
	v_accvgpr_write_b32 a120, v75                              // 000000009E9C: D3D94078 1800014B
	s_mov_b32 s54, 0x84                                        // 000000009EA4: BEB600FF 00000084
	v_add_i32 v73, s54, v72                                    // 000000009EAC: D29C0049 00029036
	v_cmp_lt_i32_e64 vcc, v73, 4                               // 000000009EB4: D0C1006A 00010949
	v_min_u32_e32 v73, 4, v73                                  // 000000009EBC: 1C929284
	v_lshlrev_b32_e32 v73, 3, v73                              // 000000009EC0: 24929283
	v_lshrrev_b32_e64 v74, v73, -1                             // 000000009EC4: D110004A 00018349
	v_accvgpr_read_b32 v75, a105                               // 000000009ECC: D3D8404B 18000169
	v_cndmask_b32_e32 v75, 0, v75, vcc                         // 000000009ED4: 00969680
	v_and_b32_e32 v75, v75, v74                                // 000000009ED8: 2696954B
	v_accvgpr_write_b32 a105, v75                              // 000000009EDC: D3D94069 1800014B
	v_accvgpr_read_b32 v75, a121                               // 000000009EE4: D3D8404B 18000179
	v_cndmask_b32_e32 v75, 0, v75, vcc                         // 000000009EEC: 00969680
	v_and_b32_e32 v75, v75, v74                                // 000000009EF0: 2696954B
	v_accvgpr_write_b32 a121, v75                              // 000000009EF4: D3D94079 1800014B
	s_mov_b32 s54, 0x88                                        // 000000009EFC: BEB600FF 00000088
	v_add_i32 v73, s54, v72                                    // 000000009F04: D29C0049 00029036
	v_cmp_lt_i32_e64 vcc, v73, 4                               // 000000009F0C: D0C1006A 00010949
	v_min_u32_e32 v73, 4, v73                                  // 000000009F14: 1C929284
	v_lshlrev_b32_e32 v73, 3, v73                              // 000000009F18: 24929283
	v_lshrrev_b32_e64 v74, v73, -1                             // 000000009F1C: D110004A 00018349
	v_accvgpr_read_b32 v75, a106                               // 000000009F24: D3D8404B 1800016A
	v_cndmask_b32_e32 v75, 0, v75, vcc                         // 000000009F2C: 00969680
	v_and_b32_e32 v75, v75, v74                                // 000000009F30: 2696954B
	v_accvgpr_write_b32 a106, v75                              // 000000009F34: D3D9406A 1800014B
	v_accvgpr_read_b32 v75, a122                               // 000000009F3C: D3D8404B 1800017A
	v_cndmask_b32_e32 v75, 0, v75, vcc                         // 000000009F44: 00969680
	v_and_b32_e32 v75, v75, v74                                // 000000009F48: 2696954B
	v_accvgpr_write_b32 a122, v75                              // 000000009F4C: D3D9407A 1800014B
	s_mov_b32 s54, 0x8c                                        // 000000009F54: BEB600FF 0000008C
	v_add_i32 v73, s54, v72                                    // 000000009F5C: D29C0049 00029036
	v_cmp_lt_i32_e64 vcc, v73, 4                               // 000000009F64: D0C1006A 00010949
	v_min_u32_e32 v73, 4, v73                                  // 000000009F6C: 1C929284
	v_lshlrev_b32_e32 v73, 3, v73                              // 000000009F70: 24929283
	v_lshrrev_b32_e64 v74, v73, -1                             // 000000009F74: D110004A 00018349
	v_accvgpr_read_b32 v75, a107                               // 000000009F7C: D3D8404B 1800016B
	v_cndmask_b32_e32 v75, 0, v75, vcc                         // 000000009F84: 00969680
	v_and_b32_e32 v75, v75, v74                                // 000000009F88: 2696954B
	v_accvgpr_write_b32 a107, v75                              // 000000009F8C: D3D9406B 1800014B
	v_accvgpr_read_b32 v75, a123                               // 000000009F94: D3D8404B 1800017B
	v_cndmask_b32_e32 v75, 0, v75, vcc                         // 000000009F9C: 00969680
	v_and_b32_e32 v75, v75, v74                                // 000000009FA0: 2696954B
	v_accvgpr_write_b32 a123, v75                              // 000000009FA4: D3D9407B 1800014B
	s_mov_b32 s54, 0xc0                                        // 000000009FAC: BEB600FF 000000C0
	v_add_i32 v73, s54, v72                                    // 000000009FB4: D29C0049 00029036
	v_cmp_lt_i32_e64 vcc, v73, 4                               // 000000009FBC: D0C1006A 00010949
	v_min_u32_e32 v73, 4, v73                                  // 000000009FC4: 1C929284
	v_lshlrev_b32_e32 v73, 3, v73                              // 000000009FC8: 24929283
	v_lshrrev_b32_e64 v74, v73, -1                             // 000000009FCC: D110004A 00018349
	v_accvgpr_read_b32 v75, a108                               // 000000009FD4: D3D8404B 1800016C
	v_cndmask_b32_e32 v75, 0, v75, vcc                         // 000000009FDC: 00969680
	v_and_b32_e32 v75, v75, v74                                // 000000009FE0: 2696954B
	v_accvgpr_write_b32 a108, v75                              // 000000009FE4: D3D9406C 1800014B
	v_accvgpr_read_b32 v75, a124                               // 000000009FEC: D3D8404B 1800017C
	v_cndmask_b32_e32 v75, 0, v75, vcc                         // 000000009FF4: 00969680
	v_and_b32_e32 v75, v75, v74                                // 000000009FF8: 2696954B
	v_accvgpr_write_b32 a124, v75                              // 000000009FFC: D3D9407C 1800014B
	s_mov_b32 s54, 0xc4                                        // 00000000A004: BEB600FF 000000C4
	v_add_i32 v73, s54, v72                                    // 00000000A00C: D29C0049 00029036
	v_cmp_lt_i32_e64 vcc, v73, 4                               // 00000000A014: D0C1006A 00010949
	v_min_u32_e32 v73, 4, v73                                  // 00000000A01C: 1C929284
	v_lshlrev_b32_e32 v73, 3, v73                              // 00000000A020: 24929283
	v_lshrrev_b32_e64 v74, v73, -1                             // 00000000A024: D110004A 00018349
	v_accvgpr_read_b32 v75, a109                               // 00000000A02C: D3D8404B 1800016D
	v_cndmask_b32_e32 v75, 0, v75, vcc                         // 00000000A034: 00969680
	v_and_b32_e32 v75, v75, v74                                // 00000000A038: 2696954B
	v_accvgpr_write_b32 a109, v75                              // 00000000A03C: D3D9406D 1800014B
	v_accvgpr_read_b32 v75, a125                               // 00000000A044: D3D8404B 1800017D
	v_cndmask_b32_e32 v75, 0, v75, vcc                         // 00000000A04C: 00969680
	v_and_b32_e32 v75, v75, v74                                // 00000000A050: 2696954B
	v_accvgpr_write_b32 a125, v75                              // 00000000A054: D3D9407D 1800014B
	s_mov_b32 s54, 0xc8                                        // 00000000A05C: BEB600FF 000000C8
	v_add_i32 v73, s54, v72                                    // 00000000A064: D29C0049 00029036
	v_cmp_lt_i32_e64 vcc, v73, 4                               // 00000000A06C: D0C1006A 00010949
	v_min_u32_e32 v73, 4, v73                                  // 00000000A074: 1C929284
	v_lshlrev_b32_e32 v73, 3, v73                              // 00000000A078: 24929283
	v_lshrrev_b32_e64 v74, v73, -1                             // 00000000A07C: D110004A 00018349
	v_accvgpr_read_b32 v75, a110                               // 00000000A084: D3D8404B 1800016E
	v_cndmask_b32_e32 v75, 0, v75, vcc                         // 00000000A08C: 00969680
	v_and_b32_e32 v75, v75, v74                                // 00000000A090: 2696954B
	v_accvgpr_write_b32 a110, v75                              // 00000000A094: D3D9406E 1800014B
	v_accvgpr_read_b32 v75, a126                               // 00000000A09C: D3D8404B 1800017E
	v_cndmask_b32_e32 v75, 0, v75, vcc                         // 00000000A0A4: 00969680
	v_and_b32_e32 v75, v75, v74                                // 00000000A0A8: 2696954B
	v_accvgpr_write_b32 a126, v75                              // 00000000A0AC: D3D9407E 1800014B
	s_mov_b32 s54, 0xcc                                        // 00000000A0B4: BEB600FF 000000CC
	v_add_i32 v73, s54, v72                                    // 00000000A0BC: D29C0049 00029036
	v_cmp_lt_i32_e64 vcc, v73, 4                               // 00000000A0C4: D0C1006A 00010949
	v_min_u32_e32 v73, 4, v73                                  // 00000000A0CC: 1C929284
	v_lshlrev_b32_e32 v73, 3, v73                              // 00000000A0D0: 24929283
	v_lshrrev_b32_e64 v74, v73, -1                             // 00000000A0D4: D110004A 00018349
	v_accvgpr_read_b32 v75, a111                               // 00000000A0DC: D3D8404B 1800016F
	v_cndmask_b32_e32 v75, 0, v75, vcc                         // 00000000A0E4: 00969680
	v_and_b32_e32 v75, v75, v74                                // 00000000A0E8: 2696954B
	v_accvgpr_write_b32 a111, v75                              // 00000000A0EC: D3D9406F 1800014B
	v_accvgpr_read_b32 v75, a127                               // 00000000A0F4: D3D8404B 1800017F
	v_cndmask_b32_e32 v75, 0, v75, vcc                         // 00000000A0FC: 00969680
	v_and_b32_e32 v75, v75, v74                                // 00000000A100: 2696954B
	v_accvgpr_write_b32 a127, v75                              // 00000000A104: D3D9407F 1800014B
	s_waitcnt lgkmcnt(3)                                       // 00000000A10C: BF8CC37F
	v_mfma_f32_16x16x32_fp8_fp8 v[48:51], a[96:97], v[16:17], 0// 00000000A110: D3F30030 0A022160
	v_mfma_f32_16x16x32_fp8_fp8 v[52:55], a[112:113], v[16:17], 0// 00000000A118: D3F30034 0A022170
	v_mfma_f32_16x16x32_fp8_fp8 v[48:51], a[98:99], v[18:19], v[48:51]// 00000000A120: D3F30030 0CC22562
	buffer_load_dwordx4 a[80:83], v112, s[16:19], 0 offen offset:1024// 00000000A128: E05C1400 80845070
	v_mfma_f32_16x16x32_fp8_fp8 v[52:55], a[114:115], v[18:19], v[52:55]// 00000000A130: D3F30034 0CD22572
	s_waitcnt lgkmcnt(2)                                       // 00000000A138: BF8CC27F
	v_mfma_f32_16x16x32_fp8_fp8 v[48:51], a[100:101], v[20:21], v[48:51]// 00000000A13C: D3F30030 0CC22964
	v_mfma_f32_16x16x32_fp8_fp8 v[52:55], a[116:117], v[20:21], v[52:55]// 00000000A144: D3F30034 0CD22974
	v_mfma_f32_16x16x32_fp8_fp8 v[48:51], a[102:103], v[22:23], v[48:51]// 00000000A14C: D3F30030 0CC22D66
	buffer_load_dwordx4 a[84:87], v113, s[16:19], 0 offen offset:1024// 00000000A154: E05C1400 80845471
	v_mfma_f32_16x16x32_fp8_fp8 v[52:55], a[118:119], v[22:23], v[52:55]// 00000000A15C: D3F30034 0CD22D76
	s_waitcnt lgkmcnt(1)                                       // 00000000A164: BF8CC17F
	v_mfma_f32_16x16x32_fp8_fp8 v[48:51], a[104:105], v[24:25], v[48:51]// 00000000A168: D3F30030 0CC23168
	v_mfma_f32_16x16x32_fp8_fp8 v[52:55], a[120:121], v[24:25], v[52:55]// 00000000A170: D3F30034 0CD23178
	v_mfma_f32_16x16x32_fp8_fp8 v[48:51], a[106:107], v[26:27], v[48:51]// 00000000A178: D3F30030 0CC2356A
	buffer_load_dwordx4 a[88:91], v114, s[16:19], 0 offen offset:1024// 00000000A180: E05C1400 80845872
	v_mfma_f32_16x16x32_fp8_fp8 v[52:55], a[122:123], v[26:27], v[52:55]// 00000000A188: D3F30034 0CD2357A
	s_waitcnt lgkmcnt(0)                                       // 00000000A190: BF8CC07F
	v_mfma_f32_16x16x32_fp8_fp8 v[48:51], a[108:109], v[28:29], v[48:51]// 00000000A194: D3F30030 0CC2396C
	v_mfma_f32_16x16x32_fp8_fp8 v[52:55], a[124:125], v[28:29], v[52:55]// 00000000A19C: D3F30034 0CD2397C
	v_mfma_f32_16x16x32_fp8_fp8 v[48:51], a[110:111], v[30:31], v[48:51]// 00000000A1A4: D3F30030 0CC23D6E
	buffer_load_dwordx4 a[92:95], v115, s[16:19], 0 offen offset:1024// 00000000A1AC: E05C1400 80845C73
	v_mfma_f32_16x16x32_fp8_fp8 v[52:55], a[126:127], v[30:31], v[52:55]// 00000000A1B4: D3F30034 0CD23D7E
	s_addk_i32 s64, 0x100                                      // 00000000A1BC: B7400100
	s_branch label_1013                                        // 00000000A1C0: BF82F122

000000000000a1c4 <label_1EF1>:
	ds_write_b32 v128, v98                                     // 00000000A1C4: D81A0000 00006280
	v_pk_mul_f32 v[56:57], v[94:95], v[56:57]                  // 00000000A1CC: D3B14038 1802715E
	v_pk_mul_f32 v[58:59], v[94:95], v[58:59]                  // 00000000A1D4: D3B1403A 1802755E
	v_pk_mul_f32 v[60:61], v[94:95], v[60:61]                  // 00000000A1DC: D3B1403C 1802795E
	v_pk_mul_f32 v[62:63], v[94:95], v[62:63]                  // 00000000A1E4: D3B1403E 18027D5E
	s_waitcnt lgkmcnt(0)                                       // 00000000A1EC: BF8CC07F
	s_barrier                                                  // 00000000A1F0: BF8A0000
	ds_read_b32 v76, v129                                      // 00000000A1F4: D86C0000 4C000081
	ds_read_b32 v77, v129 offset:64                            // 00000000A1FC: D86C0040 4D000081
	ds_read_b32 v78, v129 offset:128                           // 00000000A204: D86C0080 4E000081
	ds_read_b32 v79, v129 offset:192                           // 00000000A20C: D86C00C0 4F000081
	ds_read_b32 v80, v129 offset:256                           // 00000000A214: D86C0100 50000081
	ds_read_b32 v81, v129 offset:320                           // 00000000A21C: D86C0140 51000081
	ds_read_b32 v82, v129 offset:384                           // 00000000A224: D86C0180 52000081
	ds_read_b32 v83, v129 offset:448                           // 00000000A22C: D86C01C0 53000081
	ds_read_b32 v84, v129 offset:512                           // 00000000A234: D86C0200 54000081
	ds_read_b32 v85, v129 offset:576                           // 00000000A23C: D86C0240 55000081
	ds_read_b32 v86, v129 offset:640                           // 00000000A244: D86C0280 56000081
	ds_read_b32 v87, v129 offset:704                           // 00000000A24C: D86C02C0 57000081
	ds_read_b32 v88, v129 offset:768                           // 00000000A254: D86C0300 58000081
	ds_read_b32 v89, v129 offset:832                           // 00000000A25C: D86C0340 59000081
	ds_read_b32 v90, v129 offset:896                           // 00000000A264: D86C0380 5A000081
	ds_read_b32 v91, v129 offset:960                           // 00000000A26C: D86C03C0 5B000081
	v_pk_mul_f32 v[48:49], v[70:71], v[48:49]                  // 00000000A274: D3B14030 18026146
	v_pk_mul_f32 v[50:51], v[70:71], v[50:51]                  // 00000000A27C: D3B14032 18026546
	v_pk_mul_f32 v[52:53], v[70:71], v[52:53]                  // 00000000A284: D3B14034 18026946
	v_pk_mul_f32 v[54:55], v[70:71], v[54:55]                  // 00000000A28C: D3B14036 18026D46
	v_pk_add_f32 v[56:57], v[56:57], v[48:49]                  // 00000000A294: D3B24038 18026138
	v_pk_add_f32 v[58:59], v[58:59], v[50:51]                  // 00000000A29C: D3B2403A 1802653A
	v_pk_add_f32 v[60:61], v[60:61], v[52:53]                  // 00000000A2A4: D3B2403C 1802693C
	v_pk_add_f32 v[62:63], v[62:63], v[54:55]                  // 00000000A2AC: D3B2403E 18026D3E
	s_waitcnt lgkmcnt(0)                                       // 00000000A2B4: BF8CC07F
	v_mov_b64_e32 v[92:93], 0                                  // 00000000A2B8: 7EB87080
	v_pk_add_f32 v[92:93], v[76:77], v[92:93]                  // 00000000A2BC: D3B2405C 1802B94C
	v_pk_add_f32 v[92:93], v[78:79], v[92:93]                  // 00000000A2C4: D3B2405C 1802B94E
	v_pk_add_f32 v[92:93], v[80:81], v[92:93]                  // 00000000A2CC: D3B2405C 1802B950
	v_pk_add_f32 v[92:93], v[82:83], v[92:93]                  // 00000000A2D4: D3B2405C 1802B952
	v_pk_add_f32 v[92:93], v[84:85], v[92:93]                  // 00000000A2DC: D3B2405C 1802B954
	v_pk_add_f32 v[92:93], v[86:87], v[92:93]                  // 00000000A2E4: D3B2405C 1802B956
	v_pk_add_f32 v[92:93], v[88:89], v[92:93]                  // 00000000A2EC: D3B2405C 1802B958
	v_pk_add_f32 v[92:93], v[90:91], v[92:93]                  // 00000000A2F4: D3B2405C 1802B95A
	v_add_f32_e32 v98, v92, v93                                // 00000000A2FC: 02C4BB5C
	v_rcp_f32_e32 v92, v98                                     // 00000000A300: 7EB84562
	v_cmp_eq_u32_e64 s[54:55], 0, v98                          // 00000000A304: D0CA0036 0002C480
	s_nop 0                                                    // 00000000A30C: BF800000
	v_cndmask_b32_e64 v92, v92, 0, s[54:55]                    // 00000000A310: D100005C 00D9015C
	v_mov_b32_e32 v93, v92                                     // 00000000A318: 7EBA035C
	v_pk_mul_f32 v[56:57], v[92:93], v[56:57]                  // 00000000A31C: D3B14038 1802715C
	v_pk_mul_f32 v[58:59], v[92:93], v[58:59]                  // 00000000A324: D3B1403A 1802755C
	v_pk_mul_f32 v[60:61], v[92:93], v[60:61]                  // 00000000A32C: D3B1403C 1802795C
	v_pk_mul_f32 v[62:63], v[92:93], v[62:63]                  // 00000000A334: D3B1403E 18027D5C
	s_cmp_eq_i32 s73, -1                                       // 00000000A33C: BF00C149
	s_cbranch_scc0 label_1F95                                  // 00000000A340: BF840044
	v_cmp_u_f32_e64 s[98:99], v56, v56                         // 00000000A344: D0480062 00027138
	v_add3_u32 v101, v56, v104, 1                              // 00000000A34C: D1FF0065 0206D138
	v_cndmask_b32_e64 v72, v101, v103, s[98:99]                // 00000000A354: D1000048 018ACF65
	v_cmp_u_f32_e64 s[98:99], v57, v57                         // 00000000A35C: D0480062 00027339
	v_add3_u32 v101, v57, v104, 1                              // 00000000A364: D1FF0065 0206D139
	v_cndmask_b32_e64 v73, v101, v103, s[98:99]                // 00000000A36C: D1000049 018ACF65
	v_perm_b32 v56, v73, v72, s56                              // 00000000A374: D1ED0038 00E29149
	v_cmp_u_f32_e64 s[98:99], v58, v58                         // 00000000A37C: D0480062 0002753A
	v_add3_u32 v101, v58, v104, 1                              // 00000000A384: D1FF0065 0206D13A
	v_cndmask_b32_e64 v72, v101, v103, s[98:99]                // 00000000A38C: D1000048 018ACF65
	v_cmp_u_f32_e64 s[98:99], v59, v59                         // 00000000A394: D0480062 0002773B
	v_add3_u32 v101, v59, v104, 1                              // 00000000A39C: D1FF0065 0206D13B
	v_cndmask_b32_e64 v73, v101, v103, s[98:99]                // 00000000A3A4: D1000049 018ACF65
	v_perm_b32 v57, v73, v72, s56                              // 00000000A3AC: D1ED0039 00E29149
	v_cmp_u_f32_e64 s[98:99], v60, v60                         // 00000000A3B4: D0480062 0002793C
	v_add3_u32 v101, v60, v104, 1                              // 00000000A3BC: D1FF0065 0206D13C
	v_cndmask_b32_e64 v72, v101, v103, s[98:99]                // 00000000A3C4: D1000048 018ACF65
	v_cmp_u_f32_e64 s[98:99], v61, v61                         // 00000000A3CC: D0480062 00027B3D
	v_add3_u32 v101, v61, v104, 1                              // 00000000A3D4: D1FF0065 0206D13D
	v_cndmask_b32_e64 v73, v101, v103, s[98:99]                // 00000000A3DC: D1000049 018ACF65
	v_perm_b32 v58, v73, v72, s56                              // 00000000A3E4: D1ED003A 00E29149
	v_cmp_u_f32_e64 s[98:99], v62, v62                         // 00000000A3EC: D0480062 00027D3E
	v_add3_u32 v101, v62, v104, 1                              // 00000000A3F4: D1FF0065 0206D13E
	v_cndmask_b32_e64 v72, v101, v103, s[98:99]                // 00000000A3FC: D1000048 018ACF65
	v_cmp_u_f32_e64 s[98:99], v63, v63                         // 00000000A404: D0480062 00027F3F
	v_add3_u32 v101, v63, v104, 1                              // 00000000A40C: D1FF0065 0206D13F
	v_cndmask_b32_e64 v73, v101, v103, s[98:99]                // 00000000A414: D1000049 018ACF65
	v_perm_b32 v59, v73, v72, s56                              // 00000000A41C: D1ED003B 00E29149
	ds_write_b64 v126, v[56:57] offset:2560                    // 00000000A424: D89A0A00 0000387E
	ds_write_b64 v126, v[58:59] offset:4864                    // 00000000A42C: D89A1300 00003A7E
	s_waitcnt lgkmcnt(0)                                       // 00000000A434: BF8CC07F
	s_barrier                                                  // 00000000A438: BF8A0000
	ds_read_b128 v[56:59], v127 offset:2560                    // 00000000A43C: D9FE0A00 3800007F
	s_waitcnt lgkmcnt(0)                                       // 00000000A444: BF8CC07F
	buffer_store_dwordx4 v[56:59], v109, s[4:7], 0 offen       // 00000000A448: E07C1000 8001386D
	s_branch label_1FA5                                        // 00000000A450: BF820010

000000000000a454 <label_1F95>:
	v_rcp_f32_e32 v75, 0x3fb8aa3b                              // 00000000A454: 7E9644FF 3FB8AA3B
	v_log_f32_e32 v72, v98                                     // 00000000A45C: 7E904362
	v_mul_f32_e64 v73, v96, s46                                // 00000000A460: D1050049 00005D60
	v_add_f32_e32 v100, v72, v73                               // 00000000A468: 02C89348
	v_mul_f32_e32 v100, v100, v75                              // 00000000A46C: 0AC89764
	buffer_store_dword v100, v118, s[32:35], 0 offen           // 00000000A470: E0701000 80086476
	v_add_u32_e32 v72, 0, v120                                 // 00000000A478: 6890F080
	buffer_store_dwordx4 v[56:59], v72, s[28:31], 0 offen      // 00000000A47C: E07C1000 80073848
	v_add_u32_e32 v72, 0x100, v120                             // 00000000A484: 6890F0FF 00000100
	buffer_store_dwordx4 v[60:63], v72, s[28:31], 0 offen      // 00000000A48C: E07C1000 80073C48

000000000000a494 <label_1FA5>:
	s_addk_i32 s80, 0x1                                        // 00000000A494: B7500001
	s_branch label_0152                                        // 00000000A498: BF82E1AB

000000000000a49c <label_1FA7>:
	s_waitcnt vmcnt(0) expcnt(0) lgkmcnt(0)                    // 00000000A49C: BF8C0000
	s_endpgm                                                   // 00000000A4A0: BF810000
